;; amdgpu-corpus repo=ROCm/rocFFT kind=compiled arch=gfx1030 opt=O3
	.text
	.amdgcn_target "amdgcn-amd-amdhsa--gfx1030"
	.amdhsa_code_object_version 6
	.protected	bluestein_single_fwd_len102_dim1_dp_op_CI_CI ; -- Begin function bluestein_single_fwd_len102_dim1_dp_op_CI_CI
	.globl	bluestein_single_fwd_len102_dim1_dp_op_CI_CI
	.p2align	8
	.type	bluestein_single_fwd_len102_dim1_dp_op_CI_CI,@function
bluestein_single_fwd_len102_dim1_dp_op_CI_CI: ; @bluestein_single_fwd_len102_dim1_dp_op_CI_CI
; %bb.0:
	s_mov_b64 s[58:59], s[2:3]
	s_mov_b64 s[56:57], s[0:1]
	s_load_dwordx4 s[0:3], s[4:5], 0x28
	v_mul_u32_u24_e32 v1, 0xf10, v0
	s_add_u32 s56, s56, s7
	s_addc_u32 s57, s57, 0
	v_lshrrev_b32_e32 v1, 16, v1
	v_mad_u64_u32 v[112:113], null, s6, 7, v[1:2]
	v_mov_b32_e32 v113, 0
	s_waitcnt lgkmcnt(0)
	v_cmp_gt_u64_e32 vcc_lo, s[0:1], v[112:113]
	s_and_saveexec_b32 s0, vcc_lo
	s_cbranch_execz .LBB0_15
; %bb.1:
	v_mul_hi_u32 v2, 0x24924925, v112
	v_mul_lo_u16 v1, v1, 17
	s_clause 0x1
	s_load_dwordx2 s[6:7], s[4:5], 0x0
	s_load_dwordx2 s[12:13], s[4:5], 0x38
	v_sub_nc_u16 v0, v0, v1
	v_sub_nc_u32_e32 v3, v112, v2
	v_and_b32_e32 v183, 0xffff, v0
	v_cmp_gt_u16_e32 vcc_lo, 6, v0
	v_lshrrev_b32_e32 v3, 1, v3
	v_or_b32_e32 v0, 24, v183
	v_lshlrev_b32_e32 v255, 4, v183
	v_add_nc_u32_e32 v2, v3, v2
	buffer_store_dword v0, off, s[56:59], 0 offset:16 ; 4-byte Folded Spill
	v_or_b32_e32 v0, 48, v183
	v_lshrrev_b32_e32 v2, 2, v2
	buffer_store_dword v0, off, s[56:59], 0 offset:12 ; 4-byte Folded Spill
	v_mul_lo_u32 v2, v2, 7
	v_or_b32_e32 v0, 0x48, v183
	buffer_store_dword v0, off, s[56:59], 0 offset:8 ; 4-byte Folded Spill
	v_sub_nc_u32_e32 v1, v112, v2
	v_mul_u32_u24_e32 v190, 0x66, v1
	v_lshlrev_b32_e32 v0, 4, v190
	buffer_store_dword v0, off, s[56:59], 0 ; 4-byte Folded Spill
	v_or_b32_e32 v0, 0x60, v183
	buffer_store_dword v0, off, s[56:59], 0 offset:4 ; 4-byte Folded Spill
	s_and_saveexec_b32 s1, vcc_lo
	s_cbranch_execz .LBB0_3
; %bb.2:
	s_load_dwordx2 s[8:9], s[4:5], 0x18
	v_or_b32_e32 v27, 24, v183
	v_or_b32_e32 v28, 48, v183
	;; [unrolled: 1-line block ×4, first 2 shown]
	s_waitcnt lgkmcnt(0)
	s_load_dwordx4 s[8:11], s[8:9], 0x0
	s_clause 0x2
	global_load_dwordx4 v[0:3], v255, s[6:7] offset:1536
	global_load_dwordx4 v[4:7], v255, s[6:7]
	global_load_dwordx4 v[8:11], v255, s[6:7] offset:96
	s_waitcnt lgkmcnt(0)
	v_mad_u64_u32 v[12:13], null, s10, v112, 0
	v_mad_u64_u32 v[14:15], null, s8, v183, 0
	;; [unrolled: 1-line block ×9, first 2 shown]
	v_mov_b32_e32 v13, v24
	v_mad_u64_u32 v[27:28], null, s9, v28, v[19:20]
	v_mov_b32_e32 v15, v25
	v_mad_u64_u32 v[28:29], null, s9, v29, v[21:22]
	v_lshlrev_b64 v[12:13], 4, v[12:13]
	v_mov_b32_e32 v17, v26
	s_mul_i32 s0, s9, 0x60
	s_mul_hi_u32 s10, s8, 0x60
	v_mad_u64_u32 v[29:30], null, s9, v30, v[23:24]
	v_lshlrev_b64 v[14:15], 4, v[14:15]
	s_add_i32 s10, s10, s0
	v_mov_b32_e32 v19, v27
	v_add_co_u32 v26, s0, s2, v12
	v_lshlrev_b64 v[16:17], 4, v[16:17]
	v_add_co_ci_u32_e64 v27, s0, s3, v13, s0
	v_mov_b32_e32 v21, v28
	v_lshlrev_b64 v[18:19], 4, v[18:19]
	v_add_co_u32 v24, s0, v26, v14
	v_mov_b32_e32 v23, v29
	v_add_co_ci_u32_e64 v25, s0, v27, v15, s0
	v_lshlrev_b64 v[20:21], 4, v[20:21]
	v_add_co_u32 v40, s0, v26, v16
	v_add_co_ci_u32_e64 v41, s0, v27, v17, s0
	v_lshlrev_b64 v[12:13], 4, v[22:23]
	v_add_co_u32 v14, s0, v26, v18
	v_add_co_ci_u32_e64 v15, s0, v27, v19, s0
	v_add_co_u32 v16, s0, v26, v20
	v_add_co_ci_u32_e64 v17, s0, v27, v21, s0
	v_add_co_u32 v20, s0, v26, v12
	s_mul_i32 s14, s8, 0x60
	v_add_co_ci_u32_e64 v21, s0, v27, v13, s0
	v_add_co_u32 v28, s0, v24, s14
	v_add_co_ci_u32_e64 v29, s0, s10, v25, s0
	s_mul_i32 s15, s9, 0xc0
	v_add_co_u32 v72, s0, v28, s14
	v_add_co_ci_u32_e64 v73, s0, s10, v29, s0
	s_mul_hi_u32 s16, s8, 0xc0
	v_add_co_u32 v76, s0, v72, s14
	v_add_co_ci_u32_e64 v77, s0, s10, v73, s0
	s_mulk_i32 s8, 0xc0
	s_add_i32 s16, s16, s15
	v_add_co_u32 v64, s0, v76, s8
	v_add_co_ci_u32_e64 v65, s0, s16, v77, s0
	s_clause 0x1
	global_load_dwordx4 v[12:15], v[14:15], off
	global_load_dwordx4 v[16:19], v[16:17], off
	v_add_co_u32 v84, s0, v64, s14
	v_add_co_ci_u32_e64 v85, s0, s10, v65, s0
	global_load_dwordx4 v[20:23], v[20:21], off
	v_add_co_u32 v92, s0, v84, s14
	v_add_co_ci_u32_e64 v93, s0, s10, v85, s0
	s_clause 0x1
	global_load_dwordx4 v[24:27], v[24:25], off
	global_load_dwordx4 v[28:31], v[28:29], off
	s_clause 0x1
	global_load_dwordx4 v[32:35], v255, s[6:7] offset:384
	global_load_dwordx4 v[36:39], v255, s[6:7] offset:480
	s_clause 0x1
	global_load_dwordx4 v[40:43], v[40:41], off
	global_load_dwordx4 v[44:47], v[64:65], off
	s_clause 0x3
	global_load_dwordx4 v[48:51], v255, s[6:7] offset:768
	global_load_dwordx4 v[52:55], v255, s[6:7] offset:864
	;; [unrolled: 1-line block ×4, first 2 shown]
	v_add_co_u32 v96, s0, v92, s8
	v_add_co_ci_u32_e64 v97, s0, s16, v93, s0
	s_clause 0x1
	global_load_dwordx4 v[64:67], v255, s[6:7] offset:192
	global_load_dwordx4 v[68:71], v255, s[6:7] offset:288
	s_clause 0x1
	global_load_dwordx4 v[72:75], v[72:73], off
	global_load_dwordx4 v[76:79], v[76:77], off
	global_load_dwordx4 v[80:83], v[84:85], off
	v_add_co_u32 v100, s0, v96, s14
	v_add_co_ci_u32_e64 v101, s0, s10, v97, s0
	s_clause 0x1
	global_load_dwordx4 v[84:87], v255, s[6:7] offset:576
	global_load_dwordx4 v[88:91], v255, s[6:7] offset:672
	v_add_co_u32 v113, s0, v100, s14
	v_add_co_ci_u32_e64 v114, s0, s10, v101, s0
	global_load_dwordx4 v[92:95], v[92:93], off
	v_add_co_u32 v117, s0, v113, s8
	v_add_co_ci_u32_e64 v118, s0, s16, v114, s0
	global_load_dwordx4 v[96:99], v[96:97], off
	;; [unrolled: 3-line block ×3, first 2 shown]
	s_clause 0x1
	global_load_dwordx4 v[104:107], v255, s[6:7] offset:960
	global_load_dwordx4 v[108:111], v255, s[6:7] offset:1056
	global_load_dwordx4 v[113:116], v[113:114], off
	v_add_co_u32 v133, s0, v121, s14
	v_add_co_ci_u32_e64 v134, s0, s10, v122, s0
	global_load_dwordx4 v[117:120], v[117:118], off
	global_load_dwordx4 v[121:124], v[121:122], off
	s_clause 0x1
	global_load_dwordx4 v[125:128], v255, s[6:7] offset:1344
	global_load_dwordx4 v[129:132], v255, s[6:7] offset:1440
	global_load_dwordx4 v[133:136], v[133:134], off
	s_waitcnt vmcnt(27)
	v_mul_f64 v[137:138], v[26:27], v[6:7]
	v_mul_f64 v[6:7], v[24:25], v[6:7]
	s_waitcnt vmcnt(26)
	v_mul_f64 v[147:148], v[30:31], v[10:11]
	v_mul_f64 v[149:150], v[28:29], v[10:11]
	;; [unrolled: 3-line block ×5, first 2 shown]
	v_mul_f64 v[145:146], v[22:23], v[2:3]
	v_mul_f64 v[157:158], v[46:47], v[38:39]
	s_waitcnt vmcnt(15)
	v_mul_f64 v[153:154], v[74:75], v[66:67]
	v_mul_f64 v[66:67], v[72:73], v[66:67]
	s_waitcnt vmcnt(14)
	v_mul_f64 v[155:156], v[78:79], v[70:71]
	v_mul_f64 v[70:71], v[76:77], v[70:71]
	;; [unrolled: 1-line block ×4, first 2 shown]
	v_fma_f64 v[2:3], v[24:25], v[4:5], v[137:138]
	v_fma_f64 v[4:5], v[26:27], v[4:5], -v[6:7]
	v_fma_f64 v[24:25], v[40:41], v[32:33], v[139:140]
	v_fma_f64 v[26:27], v[42:43], v[32:33], -v[34:35]
	;; [unrolled: 2-line block ×3, first 2 shown]
	s_waitcnt vmcnt(12)
	v_mul_f64 v[42:43], v[82:83], v[86:87]
	v_mul_f64 v[48:49], v[80:81], v[86:87]
	v_fma_f64 v[14:15], v[16:17], v[56:57], v[143:144]
	v_fma_f64 v[16:17], v[18:19], v[56:57], -v[58:59]
	v_fma_f64 v[6:7], v[20:21], v[0:1], v[145:146]
	v_fma_f64 v[18:19], v[28:29], v[8:9], v[147:148]
	v_fma_f64 v[20:21], v[30:31], v[8:9], -v[149:150]
	s_waitcnt vmcnt(10)
	v_mul_f64 v[8:9], v[94:95], v[90:91]
	v_mul_f64 v[50:51], v[92:93], v[90:91]
	s_waitcnt vmcnt(9)
	v_mul_f64 v[56:57], v[98:99], v[54:55]
	v_mul_f64 v[54:55], v[96:97], v[54:55]
	s_waitcnt vmcnt(7)
	v_mul_f64 v[58:59], v[102:103], v[106:107]
	v_mul_f64 v[86:87], v[100:101], v[106:107]
	s_waitcnt vmcnt(5)
	v_mul_f64 v[90:91], v[115:116], v[110:111]
	v_mul_f64 v[106:107], v[113:114], v[110:111]
	s_waitcnt vmcnt(4)
	v_mul_f64 v[110:111], v[119:120], v[62:63]
	v_mul_f64 v[137:138], v[117:118], v[62:63]
	s_waitcnt vmcnt(2)
	v_mul_f64 v[139:140], v[123:124], v[127:128]
	v_mul_f64 v[127:128], v[121:122], v[127:128]
	s_waitcnt vmcnt(0)
	v_mul_f64 v[141:142], v[135:136], v[131:132]
	v_mul_f64 v[131:132], v[133:134], v[131:132]
	v_fma_f64 v[28:29], v[72:73], v[64:65], v[153:154]
	v_fma_f64 v[30:31], v[74:75], v[64:65], -v[66:67]
	v_fma_f64 v[32:33], v[76:77], v[68:69], v[155:156]
	v_fma_f64 v[34:35], v[78:79], v[68:69], -v[70:71]
	;; [unrolled: 2-line block ×8, first 2 shown]
	v_fma_f64 v[8:9], v[22:23], v[0:1], -v[151:152]
	v_lshlrev_b32_e32 v1, 4, v190
	v_fma_f64 v[58:59], v[117:118], v[60:61], v[110:111]
	v_fma_f64 v[60:61], v[119:120], v[60:61], -v[137:138]
	v_fma_f64 v[66:67], v[121:122], v[125:126], v[139:140]
	v_fma_f64 v[68:69], v[123:124], v[125:126], -v[127:128]
	;; [unrolled: 2-line block ×3, first 2 shown]
	v_lshl_add_u32 v0, v183, 4, v1
	v_add_nc_u32_e32 v1, v1, v255
	ds_write_b128 v0, v[2:5]
	ds_write_b128 v1, v[24:27] offset:384
	ds_write_b128 v1, v[10:13] offset:768
	;; [unrolled: 1-line block ×16, first 2 shown]
.LBB0_3:
	s_or_b32 exec_lo, exec_lo, s1
	s_load_dwordx2 s[0:1], s[4:5], 0x20
	s_waitcnt lgkmcnt(0)
	s_waitcnt_vscnt null, 0x0
	s_barrier
	buffer_gl0_inv
                                        ; implicit-def: $vgpr82_vgpr83
                                        ; implicit-def: $vgpr78_vgpr79
                                        ; implicit-def: $vgpr74_vgpr75
                                        ; implicit-def: $vgpr70_vgpr71
                                        ; implicit-def: $vgpr66_vgpr67
                                        ; implicit-def: $vgpr62_vgpr63
                                        ; implicit-def: $vgpr22_vgpr23
                                        ; implicit-def: $vgpr84_vgpr85
                                        ; implicit-def: $vgpr88_vgpr89
                                        ; implicit-def: $vgpr96_vgpr97
                                        ; implicit-def: $vgpr100_vgpr101
                                        ; implicit-def: $vgpr92_vgpr93
                                        ; implicit-def: $vgpr52_vgpr53
                                        ; implicit-def: $vgpr48_vgpr49
                                        ; implicit-def: $vgpr40_vgpr41
                                        ; implicit-def: $vgpr36_vgpr37
                                        ; implicit-def: $vgpr32_vgpr33
	s_and_saveexec_b32 s2, vcc_lo
	s_cbranch_execz .LBB0_5
; %bb.4:
	v_lshl_add_u32 v0, v190, 4, v255
	ds_read_b128 v[20:23], v0
	ds_read_b128 v[60:63], v0 offset:96
	ds_read_b128 v[64:67], v0 offset:192
	;; [unrolled: 1-line block ×16, first 2 shown]
.LBB0_5:
	s_or_b32 exec_lo, exec_lo, s2
	s_waitcnt lgkmcnt(0)
	v_add_f64 v[2:3], v[62:63], -v[34:35]
	s_mov_b32 s38, 0x5d8e7cdc
	s_mov_b32 s39, 0xbfd71e95
	v_add_f64 v[0:1], v[60:61], -v[32:33]
	v_add_f64 v[123:124], v[66:67], -v[38:39]
	s_mov_b32 s46, 0x2a9d6da3
	s_mov_b32 s34, 0x7c9e640b
	;; [unrolled: 1-line block ×8, first 2 shown]
	v_add_f64 v[121:122], v[64:65], -v[36:37]
	v_add_f64 v[117:118], v[60:61], v[32:33]
	s_load_dwordx2 s[2:3], s[4:5], 0x8
	s_mov_b32 s4, 0x370991
	s_mov_b32 s5, 0x3fedd6d0
	v_add_f64 v[119:120], v[62:63], v[34:35]
	v_add_f64 v[113:114], v[64:65], v[36:37]
	s_mov_b32 s8, 0x75d4884
	s_mov_b32 s9, 0x3fe7a5f6
	v_mul_f64 v[4:5], v[2:3], s[38:39]
	v_mul_f64 v[8:9], v[2:3], s[46:47]
	;; [unrolled: 1-line block ×11, first 2 shown]
	v_add_f64 v[115:116], v[66:67], v[38:39]
	s_mov_b32 s10, 0x3259b75e
	v_mul_f64 v[127:128], v[121:122], s[46:47]
	s_mov_b32 s11, 0x3fb79ee6
	s_mov_b32 s26, 0x6c9a05f6
	;; [unrolled: 1-line block ×8, first 2 shown]
	buffer_store_dword v4, off, s[56:59], 0 offset:20 ; 4-byte Folded Spill
	buffer_store_dword v5, off, s[56:59], 0 offset:24 ; 4-byte Folded Spill
	;; [unrolled: 1-line block ×24, first 2 shown]
	s_mov_b32 s37, 0xbfc7851a
	s_mov_b32 s20, 0x7faef3
	;; [unrolled: 1-line block ×11, first 2 shown]
	v_mul_f64 v[28:29], v[2:3], s[26:27]
	s_mov_b32 s49, 0x3feec746
	s_mov_b32 s48, s24
	v_mul_f64 v[44:45], v[0:1], s[26:27]
	v_mul_f64 v[56:57], v[2:3], s[30:31]
	s_mov_b32 s29, 0x3feca52d
	s_mov_b32 s28, s34
	v_mul_f64 v[104:105], v[0:1], s[30:31]
	;; [unrolled: 4-line block ×3, first 2 shown]
	v_add_f64 v[149:150], v[68:69], v[40:41]
	v_add_f64 v[151:152], v[70:71], v[42:43]
	s_mov_b32 s43, 0x3fc7851a
	s_mov_b32 s42, s36
	v_add_f64 v[171:172], v[72:73], v[48:49]
	v_add_f64 v[175:176], v[74:75], v[50:51]
	s_mov_b32 s53, 0x3fe9895b
	s_mov_b32 s52, s26
	v_add_f64 v[195:196], v[76:77], v[52:53]
	v_add_f64 v[199:200], v[78:79], v[54:55]
	v_fma_f64 v[30:31], v[117:118], s[16:17], -v[28:29]
	v_fma_f64 v[28:29], v[117:118], s[16:17], v[28:29]
	v_add_f64 v[217:218], v[80:81], v[92:93]
	v_fma_f64 v[46:47], v[119:120], s[16:17], v[44:45]
	v_fma_f64 v[44:45], v[119:120], s[16:17], -v[44:45]
	v_fma_f64 v[58:59], v[117:118], s[18:19], -v[56:57]
	v_fma_f64 v[56:57], v[117:118], s[18:19], v[56:57]
	v_fma_f64 v[106:107], v[119:120], s[18:19], v[104:105]
	v_fma_f64 v[104:105], v[119:120], s[18:19], -v[104:105]
	v_fma_f64 v[108:109], v[117:118], s[20:21], -v[2:3]
	v_fma_f64 v[2:3], v[117:118], s[20:21], v[2:3]
	v_fma_f64 v[110:111], v[119:120], s[20:21], v[0:1]
	v_fma_f64 v[0:1], v[119:120], s[20:21], -v[0:1]
	v_add_f64 v[219:220], v[82:83], v[94:95]
	v_add_f64 v[241:242], v[84:85], v[100:101]
	;; [unrolled: 1-line block ×3, first 2 shown]
	v_add_f64 v[181:182], v[90:91], -v[98:99]
	v_add_f64 v[179:180], v[88:89], -v[96:97]
	v_add_f64 v[30:31], v[20:21], v[30:31]
	v_add_f64 v[28:29], v[20:21], v[28:29]
	;; [unrolled: 1-line block ×12, first 2 shown]
	v_mul_f64 v[159:160], v[181:182], s[44:45]
	v_mul_f64 v[157:158], v[179:180], s[36:37]
	;; [unrolled: 1-line block ×4, first 2 shown]
	v_fma_f64 v[4:5], v[117:118], s[4:5], v[4:5]
	v_fma_f64 v[6:7], v[119:120], s[4:5], -v[6:7]
	v_fma_f64 v[8:9], v[117:118], s[8:9], v[8:9]
	v_fma_f64 v[10:11], v[119:120], s[8:9], -v[10:11]
	;; [unrolled: 2-line block ×5, first 2 shown]
	v_fma_f64 v[125:126], v[113:114], s[8:9], v[125:126]
	v_add_f64 v[4:5], v[20:21], v[4:5]
	v_add_f64 v[6:7], v[22:23], v[6:7]
	;; [unrolled: 1-line block ×11, first 2 shown]
	v_fma_f64 v[125:126], v[115:116], s[8:9], -v[127:128]
	v_mul_f64 v[127:128], v[121:122], s[40:41]
	v_add_f64 v[6:7], v[125:126], v[6:7]
	v_mul_f64 v[125:126], v[123:124], s[40:41]
	buffer_store_dword v125, off, s[56:59], 0 offset:148 ; 4-byte Folded Spill
	buffer_store_dword v126, off, s[56:59], 0 offset:152 ; 4-byte Folded Spill
	buffer_store_dword v127, off, s[56:59], 0 offset:156 ; 4-byte Folded Spill
	buffer_store_dword v128, off, s[56:59], 0 offset:160 ; 4-byte Folded Spill
	v_fma_f64 v[125:126], v[113:114], s[10:11], v[125:126]
	v_add_f64 v[8:9], v[125:126], v[8:9]
	v_fma_f64 v[125:126], v[115:116], s[10:11], -v[127:128]
	v_mul_f64 v[127:128], v[121:122], s[26:27]
	v_add_f64 v[10:11], v[125:126], v[10:11]
	v_mul_f64 v[125:126], v[123:124], s[26:27]
	buffer_store_dword v125, off, s[56:59], 0 offset:132 ; 4-byte Folded Spill
	buffer_store_dword v126, off, s[56:59], 0 offset:136 ; 4-byte Folded Spill
	buffer_store_dword v127, off, s[56:59], 0 offset:140 ; 4-byte Folded Spill
	buffer_store_dword v128, off, s[56:59], 0 offset:144 ; 4-byte Folded Spill
	v_fma_f64 v[125:126], v[113:114], s[16:17], v[125:126]
	v_add_f64 v[12:13], v[125:126], v[12:13]
	;; [unrolled: 10-line block ×4, first 2 shown]
	v_fma_f64 v[125:126], v[115:116], s[18:19], -v[127:128]
	v_add_f64 v[26:27], v[125:126], v[26:27]
	v_mul_f64 v[125:126], v[123:124], s[48:49]
	v_fma_f64 v[127:128], v[113:114], s[22:23], -v[125:126]
	v_fma_f64 v[125:126], v[113:114], s[22:23], v[125:126]
	v_add_f64 v[30:31], v[127:128], v[30:31]
	v_mul_f64 v[127:128], v[121:122], s[48:49]
	v_add_f64 v[28:29], v[125:126], v[28:29]
	v_fma_f64 v[125:126], v[115:116], s[22:23], -v[127:128]
	v_fma_f64 v[129:130], v[115:116], s[22:23], v[127:128]
	v_add_f64 v[44:45], v[125:126], v[44:45]
	v_mul_f64 v[125:126], v[123:124], s[28:29]
	v_mul_f64 v[123:124], v[123:124], s[44:45]
	v_add_f64 v[46:47], v[129:130], v[46:47]
	v_fma_f64 v[127:128], v[113:114], s[14:15], -v[125:126]
	v_fma_f64 v[125:126], v[113:114], s[14:15], v[125:126]
	v_add_f64 v[58:59], v[127:128], v[58:59]
	v_mul_f64 v[127:128], v[121:122], s[28:29]
	v_add_f64 v[56:57], v[125:126], v[56:57]
	v_mul_f64 v[121:122], v[121:122], s[44:45]
	v_fma_f64 v[125:126], v[115:116], s[14:15], -v[127:128]
	v_fma_f64 v[129:130], v[115:116], s[14:15], v[127:128]
	v_add_f64 v[104:105], v[125:126], v[104:105]
	v_fma_f64 v[125:126], v[113:114], s[4:5], -v[123:124]
	v_fma_f64 v[123:124], v[113:114], s[4:5], v[123:124]
	v_add_f64 v[106:107], v[129:130], v[106:107]
	v_add_f64 v[108:109], v[125:126], v[108:109]
	v_fma_f64 v[125:126], v[115:116], s[4:5], v[121:122]
	v_add_f64 v[2:3], v[123:124], v[2:3]
	v_fma_f64 v[121:122], v[115:116], s[4:5], -v[121:122]
	v_add_f64 v[123:124], v[70:71], -v[42:43]
	v_add_f64 v[110:111], v[125:126], v[110:111]
	v_add_f64 v[0:1], v[121:122], v[0:1]
	v_add_f64 v[121:122], v[68:69], -v[40:41]
	v_mul_f64 v[125:126], v[123:124], s[34:35]
	buffer_store_dword v125, off, s[56:59], 0 offset:244 ; 4-byte Folded Spill
	buffer_store_dword v126, off, s[56:59], 0 offset:248 ; 4-byte Folded Spill
	v_mul_f64 v[127:128], v[121:122], s[34:35]
	buffer_store_dword v127, off, s[56:59], 0 offset:252 ; 4-byte Folded Spill
	buffer_store_dword v128, off, s[56:59], 0 offset:256 ; 4-byte Folded Spill
	v_fma_f64 v[125:126], v[149:150], s[14:15], v[125:126]
	v_add_f64 v[4:5], v[125:126], v[4:5]
	v_fma_f64 v[125:126], v[151:152], s[14:15], -v[127:128]
	v_mul_f64 v[127:128], v[121:122], s[26:27]
	v_add_f64 v[6:7], v[125:126], v[6:7]
	v_mul_f64 v[125:126], v[123:124], s[26:27]
	buffer_store_dword v125, off, s[56:59], 0 offset:228 ; 4-byte Folded Spill
	buffer_store_dword v126, off, s[56:59], 0 offset:232 ; 4-byte Folded Spill
	;; [unrolled: 1-line block ×4, first 2 shown]
	v_fma_f64 v[125:126], v[149:150], s[16:17], v[125:126]
	v_add_f64 v[8:9], v[125:126], v[8:9]
	v_fma_f64 v[125:126], v[151:152], s[16:17], -v[127:128]
	v_mul_f64 v[127:128], v[121:122], s[42:43]
	v_add_f64 v[10:11], v[125:126], v[10:11]
	v_mul_f64 v[125:126], v[123:124], s[42:43]
	buffer_store_dword v125, off, s[56:59], 0 offset:212 ; 4-byte Folded Spill
	buffer_store_dword v126, off, s[56:59], 0 offset:216 ; 4-byte Folded Spill
	buffer_store_dword v127, off, s[56:59], 0 offset:220 ; 4-byte Folded Spill
	buffer_store_dword v128, off, s[56:59], 0 offset:224 ; 4-byte Folded Spill
	s_mov_b32 s43, 0x3fe58eea
	s_mov_b32 s42, s46
	v_mul_f64 v[169:170], v[179:180], s[42:43]
	v_fma_f64 v[125:126], v[149:150], s[20:21], v[125:126]
	v_add_f64 v[12:13], v[125:126], v[12:13]
	v_fma_f64 v[125:126], v[151:152], s[20:21], -v[127:128]
	v_mul_f64 v[127:128], v[121:122], s[48:49]
	v_add_f64 v[14:15], v[125:126], v[14:15]
	v_mul_f64 v[125:126], v[123:124], s[48:49]
	buffer_store_dword v125, off, s[56:59], 0 offset:196 ; 4-byte Folded Spill
	buffer_store_dword v126, off, s[56:59], 0 offset:200 ; 4-byte Folded Spill
	;; [unrolled: 1-line block ×4, first 2 shown]
	v_fma_f64 v[125:126], v[149:150], s[22:23], v[125:126]
	v_add_f64 v[16:17], v[125:126], v[16:17]
	v_fma_f64 v[125:126], v[151:152], s[22:23], -v[127:128]
	v_mul_f64 v[127:128], v[121:122], s[42:43]
	v_add_f64 v[18:19], v[125:126], v[18:19]
	v_mul_f64 v[125:126], v[123:124], s[42:43]
	buffer_store_dword v125, off, s[56:59], 0 offset:180 ; 4-byte Folded Spill
	buffer_store_dword v126, off, s[56:59], 0 offset:184 ; 4-byte Folded Spill
	;; [unrolled: 1-line block ×4, first 2 shown]
	v_fma_f64 v[125:126], v[149:150], s[8:9], v[125:126]
	v_add_f64 v[24:25], v[125:126], v[24:25]
	v_fma_f64 v[125:126], v[151:152], s[8:9], -v[127:128]
	v_add_f64 v[26:27], v[125:126], v[26:27]
	v_mul_f64 v[125:126], v[123:124], s[38:39]
	v_fma_f64 v[127:128], v[149:150], s[4:5], -v[125:126]
	v_fma_f64 v[125:126], v[149:150], s[4:5], v[125:126]
	v_add_f64 v[30:31], v[127:128], v[30:31]
	v_mul_f64 v[127:128], v[121:122], s[38:39]
	v_add_f64 v[28:29], v[125:126], v[28:29]
	v_fma_f64 v[125:126], v[151:152], s[4:5], -v[127:128]
	v_fma_f64 v[129:130], v[151:152], s[4:5], v[127:128]
	v_add_f64 v[44:45], v[125:126], v[44:45]
	v_mul_f64 v[125:126], v[123:124], s[40:41]
	v_mul_f64 v[123:124], v[123:124], s[30:31]
	v_add_f64 v[46:47], v[129:130], v[46:47]
	v_fma_f64 v[127:128], v[149:150], s[10:11], -v[125:126]
	v_fma_f64 v[125:126], v[149:150], s[10:11], v[125:126]
	v_add_f64 v[58:59], v[127:128], v[58:59]
	v_mul_f64 v[127:128], v[121:122], s[40:41]
	v_add_f64 v[56:57], v[125:126], v[56:57]
	v_mul_f64 v[121:122], v[121:122], s[30:31]
	v_fma_f64 v[125:126], v[151:152], s[10:11], -v[127:128]
	v_fma_f64 v[129:130], v[151:152], s[10:11], v[127:128]
	v_add_f64 v[104:105], v[125:126], v[104:105]
	v_fma_f64 v[125:126], v[149:150], s[18:19], -v[123:124]
	v_fma_f64 v[123:124], v[149:150], s[18:19], v[123:124]
	v_add_f64 v[106:107], v[129:130], v[106:107]
	v_add_f64 v[108:109], v[125:126], v[108:109]
	v_fma_f64 v[125:126], v[151:152], s[18:19], v[121:122]
	v_add_f64 v[2:3], v[123:124], v[2:3]
	v_fma_f64 v[121:122], v[151:152], s[18:19], -v[121:122]
	v_add_f64 v[123:124], v[74:75], -v[50:51]
	v_add_f64 v[110:111], v[125:126], v[110:111]
	v_add_f64 v[0:1], v[121:122], v[0:1]
	v_add_f64 v[121:122], v[72:73], -v[48:49]
	v_mul_f64 v[209:210], v[123:124], s[40:41]
	v_mul_f64 v[205:206], v[123:124], s[36:37]
	;; [unrolled: 1-line block ×5, first 2 shown]
	v_fma_f64 v[125:126], v[171:172], s[10:11], v[209:210]
	v_mul_f64 v[207:208], v[121:122], s[36:37]
	v_mul_f64 v[203:204], v[121:122], s[48:49]
	v_mul_f64 v[197:198], v[121:122], s[44:45]
	v_mul_f64 v[191:192], v[121:122], s[34:35]
	v_add_f64 v[4:5], v[125:126], v[4:5]
	v_fma_f64 v[125:126], v[175:176], s[10:11], -v[211:212]
	v_add_f64 v[6:7], v[125:126], v[6:7]
	v_fma_f64 v[125:126], v[171:172], s[20:21], v[205:206]
	v_add_f64 v[8:9], v[125:126], v[8:9]
	v_fma_f64 v[125:126], v[175:176], s[20:21], -v[207:208]
	v_add_f64 v[10:11], v[125:126], v[10:11]
	v_fma_f64 v[125:126], v[171:172], s[22:23], v[201:202]
	;; [unrolled: 4-line block ×3, first 2 shown]
	v_add_f64 v[16:17], v[125:126], v[16:17]
	v_fma_f64 v[125:126], v[175:176], s[4:5], -v[197:198]
	v_add_f64 v[18:19], v[125:126], v[18:19]
	v_mul_f64 v[125:126], v[123:124], s[34:35]
	buffer_store_dword v125, off, s[56:59], 0 offset:260 ; 4-byte Folded Spill
	buffer_store_dword v126, off, s[56:59], 0 offset:264 ; 4-byte Folded Spill
	s_waitcnt lgkmcnt(0)
	s_waitcnt_vscnt null, 0x0
	s_barrier
	buffer_gl0_inv
	v_fma_f64 v[125:126], v[171:172], s[14:15], v[125:126]
	v_add_f64 v[24:25], v[125:126], v[24:25]
	v_fma_f64 v[125:126], v[175:176], s[14:15], -v[191:192]
	v_add_f64 v[26:27], v[125:126], v[26:27]
	v_mul_f64 v[125:126], v[123:124], s[30:31]
	v_fma_f64 v[127:128], v[171:172], s[18:19], -v[125:126]
	v_fma_f64 v[125:126], v[171:172], s[18:19], v[125:126]
	v_add_f64 v[30:31], v[127:128], v[30:31]
	v_mul_f64 v[127:128], v[121:122], s[30:31]
	v_add_f64 v[28:29], v[125:126], v[28:29]
	v_fma_f64 v[125:126], v[175:176], s[18:19], -v[127:128]
	v_fma_f64 v[129:130], v[175:176], s[18:19], v[127:128]
	v_add_f64 v[44:45], v[125:126], v[44:45]
	v_mul_f64 v[125:126], v[123:124], s[52:53]
	v_mul_f64 v[123:124], v[123:124], s[42:43]
	v_add_f64 v[46:47], v[129:130], v[46:47]
	v_fma_f64 v[127:128], v[171:172], s[16:17], -v[125:126]
	v_fma_f64 v[125:126], v[171:172], s[16:17], v[125:126]
	v_add_f64 v[58:59], v[127:128], v[58:59]
	v_mul_f64 v[127:128], v[121:122], s[52:53]
	v_add_f64 v[56:57], v[125:126], v[56:57]
	v_mul_f64 v[121:122], v[121:122], s[42:43]
	v_fma_f64 v[125:126], v[175:176], s[16:17], -v[127:128]
	v_fma_f64 v[129:130], v[175:176], s[16:17], v[127:128]
	v_add_f64 v[104:105], v[125:126], v[104:105]
	v_fma_f64 v[125:126], v[171:172], s[8:9], -v[123:124]
	v_fma_f64 v[123:124], v[171:172], s[8:9], v[123:124]
	v_add_f64 v[106:107], v[129:130], v[106:107]
	v_add_f64 v[108:109], v[125:126], v[108:109]
	v_fma_f64 v[125:126], v[175:176], s[8:9], v[121:122]
	v_add_f64 v[2:3], v[123:124], v[2:3]
	v_fma_f64 v[121:122], v[175:176], s[8:9], -v[121:122]
	v_add_f64 v[123:124], v[78:79], -v[54:55]
	v_add_f64 v[110:111], v[125:126], v[110:111]
	v_add_f64 v[0:1], v[121:122], v[0:1]
	v_add_f64 v[121:122], v[76:77], -v[52:53]
	v_mul_f64 v[233:234], v[123:124], s[24:25]
	v_mul_f64 v[229:230], v[123:124], s[50:51]
	;; [unrolled: 1-line block ×6, first 2 shown]
	v_fma_f64 v[125:126], v[195:196], s[22:23], v[233:234]
	v_mul_f64 v[231:232], v[121:122], s[50:51]
	v_mul_f64 v[227:228], v[121:122], s[42:43]
	;; [unrolled: 1-line block ×4, first 2 shown]
	s_mov_b32 s35, 0x3fefdd0d
	s_mov_b32 s34, s40
	v_add_f64 v[4:5], v[125:126], v[4:5]
	v_fma_f64 v[125:126], v[199:200], s[22:23], -v[235:236]
	v_add_f64 v[6:7], v[125:126], v[6:7]
	v_fma_f64 v[125:126], v[195:196], s[18:19], v[229:230]
	v_add_f64 v[8:9], v[125:126], v[8:9]
	v_fma_f64 v[125:126], v[199:200], s[18:19], -v[231:232]
	v_add_f64 v[10:11], v[125:126], v[10:11]
	v_fma_f64 v[125:126], v[195:196], s[8:9], v[225:226]
	;; [unrolled: 4-line block ×4, first 2 shown]
	v_add_f64 v[24:25], v[125:126], v[24:25]
	v_fma_f64 v[125:126], v[199:200], s[20:21], -v[215:216]
	v_add_f64 v[26:27], v[125:126], v[26:27]
	v_mul_f64 v[125:126], v[123:124], s[34:35]
	v_fma_f64 v[127:128], v[195:196], s[10:11], -v[125:126]
	v_fma_f64 v[125:126], v[195:196], s[10:11], v[125:126]
	v_add_f64 v[30:31], v[127:128], v[30:31]
	v_mul_f64 v[127:128], v[121:122], s[34:35]
	v_add_f64 v[28:29], v[125:126], v[28:29]
	v_fma_f64 v[125:126], v[199:200], s[10:11], -v[127:128]
	v_fma_f64 v[129:130], v[199:200], s[10:11], v[127:128]
	v_add_f64 v[44:45], v[125:126], v[44:45]
	v_mul_f64 v[125:126], v[123:124], s[38:39]
	v_add_f64 v[46:47], v[129:130], v[46:47]
	v_mul_f64 v[123:124], v[123:124], s[26:27]
	v_fma_f64 v[127:128], v[195:196], s[4:5], -v[125:126]
	v_fma_f64 v[125:126], v[195:196], s[4:5], v[125:126]
	v_add_f64 v[58:59], v[127:128], v[58:59]
	v_mul_f64 v[127:128], v[121:122], s[38:39]
	v_add_f64 v[56:57], v[125:126], v[56:57]
	v_mul_f64 v[121:122], v[121:122], s[26:27]
	v_fma_f64 v[129:130], v[199:200], s[4:5], v[127:128]
	v_fma_f64 v[125:126], v[199:200], s[4:5], -v[127:128]
	v_add_f64 v[127:128], v[80:81], -v[92:93]
	v_add_f64 v[106:107], v[129:130], v[106:107]
	v_add_f64 v[104:105], v[125:126], v[104:105]
	v_fma_f64 v[125:126], v[195:196], s[16:17], -v[123:124]
	v_fma_f64 v[123:124], v[195:196], s[16:17], v[123:124]
	v_add_f64 v[129:130], v[82:83], -v[94:95]
	v_mul_f64 v[251:252], v[127:128], s[38:39]
	v_mul_f64 v[247:248], v[127:128], s[30:31]
	;; [unrolled: 1-line block ×3, first 2 shown]
	v_add_f64 v[108:109], v[125:126], v[108:109]
	v_fma_f64 v[125:126], v[199:200], s[16:17], v[121:122]
	v_add_f64 v[2:3], v[123:124], v[2:3]
	v_fma_f64 v[121:122], v[199:200], s[16:17], -v[121:122]
	v_mul_f64 v[123:124], v[129:130], s[26:27]
	v_mul_f64 v[253:254], v[129:130], s[48:49]
	;; [unrolled: 1-line block ×5, first 2 shown]
	v_add_f64 v[110:111], v[125:126], v[110:111]
	v_mul_f64 v[125:126], v[127:128], s[26:27]
	v_add_f64 v[0:1], v[121:122], v[0:1]
	v_fma_f64 v[121:122], v[217:218], s[16:17], v[123:124]
	v_fma_f64 v[131:132], v[217:218], s[22:23], v[253:254]
	v_add_f64 v[4:5], v[121:122], v[4:5]
	v_fma_f64 v[121:122], v[219:220], s[16:17], -v[125:126]
	v_add_f64 v[8:9], v[131:132], v[8:9]
	v_add_f64 v[6:7], v[121:122], v[6:7]
	v_mul_f64 v[121:122], v[127:128], s[48:49]
	v_fma_f64 v[131:132], v[219:220], s[22:23], -v[121:122]
	v_add_f64 v[10:11], v[131:132], v[10:11]
	v_fma_f64 v[131:132], v[217:218], s[4:5], v[249:250]
	v_add_f64 v[12:13], v[131:132], v[12:13]
	v_fma_f64 v[131:132], v[219:220], s[4:5], -v[251:252]
	v_add_f64 v[14:15], v[131:132], v[14:15]
	v_fma_f64 v[131:132], v[217:218], s[18:19], v[245:246]
	v_add_f64 v[16:17], v[131:132], v[16:17]
	;; [unrolled: 4-line block ×3, first 2 shown]
	v_fma_f64 v[131:132], v[219:220], s[10:11], -v[239:240]
	v_add_f64 v[26:27], v[131:132], v[26:27]
	v_mul_f64 v[131:132], v[129:130], s[46:47]
	v_fma_f64 v[133:134], v[217:218], s[8:9], -v[131:132]
	v_fma_f64 v[131:132], v[217:218], s[8:9], v[131:132]
	v_add_f64 v[30:31], v[133:134], v[30:31]
	v_mul_f64 v[133:134], v[127:128], s[46:47]
	v_add_f64 v[28:29], v[131:132], v[28:29]
	v_fma_f64 v[131:132], v[219:220], s[8:9], -v[133:134]
	v_fma_f64 v[135:136], v[219:220], s[8:9], v[133:134]
	v_add_f64 v[44:45], v[131:132], v[44:45]
	v_mul_f64 v[131:132], v[129:130], s[36:37]
	v_mul_f64 v[129:130], v[129:130], s[28:29]
	v_add_f64 v[46:47], v[135:136], v[46:47]
	v_fma_f64 v[133:134], v[217:218], s[20:21], -v[131:132]
	v_fma_f64 v[131:132], v[217:218], s[20:21], v[131:132]
	v_add_f64 v[58:59], v[133:134], v[58:59]
	v_mul_f64 v[133:134], v[127:128], s[36:37]
	v_add_f64 v[56:57], v[131:132], v[56:57]
	v_mul_f64 v[127:128], v[127:128], s[28:29]
	v_fma_f64 v[131:132], v[219:220], s[20:21], -v[133:134]
	v_fma_f64 v[135:136], v[219:220], s[20:21], v[133:134]
	v_add_f64 v[133:134], v[86:87], -v[102:103]
	v_add_f64 v[104:105], v[131:132], v[104:105]
	v_fma_f64 v[131:132], v[217:218], s[14:15], -v[129:130]
	v_mul_f64 v[147:148], v[133:134], s[30:31]
	v_mul_f64 v[143:144], v[133:134], s[28:29]
	;; [unrolled: 1-line block ×3, first 2 shown]
	v_add_f64 v[106:107], v[135:136], v[106:107]
	v_mul_f64 v[135:136], v[133:134], s[52:53]
	v_fma_f64 v[129:130], v[217:218], s[14:15], v[129:130]
	v_mul_f64 v[155:156], v[133:134], s[36:37]
	v_add_f64 v[108:109], v[131:132], v[108:109]
	v_fma_f64 v[131:132], v[219:220], s[14:15], v[127:128]
	v_fma_f64 v[127:128], v[219:220], s[14:15], -v[127:128]
	v_add_f64 v[2:3], v[129:130], v[2:3]
	v_add_f64 v[110:111], v[131:132], v[110:111]
	v_add_f64 v[131:132], v[84:85], -v[100:101]
	v_add_f64 v[0:1], v[127:128], v[0:1]
	v_fma_f64 v[127:128], v[241:242], s[18:19], v[147:148]
	v_mul_f64 v[153:154], v[131:132], s[30:31]
	v_mul_f64 v[145:146], v[131:132], s[28:29]
	v_add_f64 v[4:5], v[127:128], v[4:5]
	v_mul_f64 v[141:142], v[131:132], s[40:41]
	v_mul_f64 v[137:138], v[131:132], s[52:53]
	;; [unrolled: 1-line block ×3, first 2 shown]
	v_fma_f64 v[127:128], v[243:244], s[18:19], -v[153:154]
	v_add_f64 v[6:7], v[127:128], v[6:7]
	v_fma_f64 v[127:128], v[241:242], s[14:15], v[143:144]
	v_add_f64 v[163:164], v[127:128], v[8:9]
	v_fma_f64 v[8:9], v[243:244], s[14:15], -v[145:146]
	v_mul_f64 v[127:128], v[133:134], s[38:39]
	v_add_f64 v[165:166], v[8:9], v[10:11]
	v_fma_f64 v[8:9], v[241:242], s[10:11], v[139:140]
	v_fma_f64 v[10:11], v[243:244], s[10:11], -v[141:142]
	v_add_f64 v[8:9], v[8:9], v[12:13]
	v_fma_f64 v[12:13], v[241:242], s[16:17], v[135:136]
	v_add_f64 v[10:11], v[10:11], v[14:15]
	v_fma_f64 v[14:15], v[243:244], s[16:17], -v[137:138]
	v_add_f64 v[12:13], v[12:13], v[16:17]
	v_fma_f64 v[16:17], v[241:242], s[4:5], v[127:128]
	v_add_f64 v[14:15], v[14:15], v[18:19]
	v_fma_f64 v[18:19], v[243:244], s[4:5], -v[129:130]
	v_add_f64 v[16:17], v[16:17], v[24:25]
	v_fma_f64 v[24:25], v[241:242], s[20:21], -v[155:156]
	v_add_f64 v[18:19], v[18:19], v[26:27]
	v_add_f64 v[24:25], v[24:25], v[30:31]
	v_mul_f64 v[30:31], v[131:132], s[36:37]
	v_fma_f64 v[26:27], v[243:244], s[20:21], v[30:31]
	v_fma_f64 v[30:31], v[243:244], s[20:21], -v[30:31]
	v_add_f64 v[26:27], v[26:27], v[46:47]
	v_fma_f64 v[46:47], v[241:242], s[20:21], v[155:156]
	v_mul_f64 v[155:156], v[133:134], s[42:43]
	v_add_f64 v[30:31], v[30:31], v[44:45]
	v_mul_f64 v[133:134], v[133:134], s[24:25]
	v_add_f64 v[28:29], v[46:47], v[28:29]
	v_fma_f64 v[44:45], v[241:242], s[8:9], -v[155:156]
	v_add_f64 v[44:45], v[44:45], v[58:59]
	v_mul_f64 v[58:59], v[131:132], s[42:43]
	v_mul_f64 v[131:132], v[131:132], s[24:25]
	v_fma_f64 v[46:47], v[243:244], s[8:9], v[58:59]
	v_fma_f64 v[58:59], v[243:244], s[8:9], -v[58:59]
	v_add_f64 v[46:47], v[46:47], v[106:107]
	v_add_f64 v[58:59], v[58:59], v[104:105]
	v_fma_f64 v[104:105], v[241:242], s[22:23], -v[133:134]
	v_fma_f64 v[106:107], v[241:242], s[8:9], v[155:156]
	v_mul_f64 v[155:156], v[181:182], s[36:37]
	v_add_f64 v[104:105], v[104:105], v[108:109]
	v_fma_f64 v[108:109], v[241:242], s[22:23], v[133:134]
	v_add_f64 v[56:57], v[106:107], v[56:57]
	v_fma_f64 v[106:107], v[243:244], s[22:23], v[131:132]
	v_add_f64 v[133:134], v[90:91], v[98:99]
	v_add_f64 v[108:109], v[108:109], v[2:3]
	v_fma_f64 v[2:3], v[243:244], s[22:23], -v[131:132]
	v_add_f64 v[131:132], v[88:89], v[96:97]
	v_add_f64 v[106:107], v[106:107], v[110:111]
	v_add_f64 v[110:111], v[2:3], v[0:1]
	v_fma_f64 v[0:1], v[131:132], s[20:21], v[155:156]
	v_fma_f64 v[2:3], v[133:134], s[20:21], -v[157:158]
	v_add_f64 v[0:1], v[0:1], v[4:5]
	v_fma_f64 v[4:5], v[131:132], s[4:5], v[159:160]
	v_add_f64 v[2:3], v[2:3], v[6:7]
	v_fma_f64 v[6:7], v[133:134], s[4:5], -v[161:162]
	v_add_f64 v[4:5], v[4:5], v[163:164]
	v_mul_f64 v[163:164], v[181:182], s[30:31]
	v_add_f64 v[6:7], v[6:7], v[165:166]
	v_mul_f64 v[165:166], v[179:180], s[30:31]
	v_fma_f64 v[167:168], v[131:132], s[18:19], v[163:164]
	v_add_f64 v[8:9], v[167:168], v[8:9]
	v_fma_f64 v[167:168], v[133:134], s[18:19], -v[165:166]
	v_add_f64 v[10:11], v[167:168], v[10:11]
	v_mul_f64 v[167:168], v[181:182], s[42:43]
	v_fma_f64 v[173:174], v[131:132], s[8:9], v[167:168]
	v_add_f64 v[12:13], v[173:174], v[12:13]
	v_fma_f64 v[173:174], v[133:134], s[8:9], -v[169:170]
	;; [unrolled: 5-line block ×3, first 2 shown]
	v_add_f64 v[18:19], v[184:185], v[18:19]
	v_mul_f64 v[184:185], v[181:182], s[28:29]
	v_fma_f64 v[186:187], v[131:132], s[14:15], -v[184:185]
	v_fma_f64 v[184:185], v[131:132], s[14:15], v[184:185]
	v_add_f64 v[24:25], v[186:187], v[24:25]
	v_mul_f64 v[186:187], v[179:180], s[28:29]
	v_add_f64 v[28:29], v[184:185], v[28:29]
	v_fma_f64 v[184:185], v[133:134], s[14:15], -v[186:187]
	v_fma_f64 v[188:189], v[133:134], s[14:15], v[186:187]
	v_add_f64 v[30:31], v[184:185], v[30:31]
	v_mul_f64 v[184:185], v[181:182], s[24:25]
	v_mul_f64 v[181:182], v[181:182], s[34:35]
	v_add_f64 v[26:27], v[188:189], v[26:27]
	v_fma_f64 v[186:187], v[131:132], s[22:23], -v[184:185]
	v_fma_f64 v[184:185], v[131:132], s[22:23], v[184:185]
	v_add_f64 v[44:45], v[186:187], v[44:45]
	v_mul_f64 v[186:187], v[179:180], s[24:25]
	v_add_f64 v[56:57], v[184:185], v[56:57]
	v_mul_f64 v[179:180], v[179:180], s[34:35]
	v_fma_f64 v[184:185], v[133:134], s[22:23], -v[186:187]
	v_fma_f64 v[188:189], v[133:134], s[22:23], v[186:187]
	v_add_f64 v[58:59], v[184:185], v[58:59]
	v_fma_f64 v[184:185], v[131:132], s[10:11], -v[181:182]
	v_fma_f64 v[181:182], v[131:132], s[10:11], v[181:182]
	v_add_f64 v[46:47], v[188:189], v[46:47]
	v_add_f64 v[104:105], v[184:185], v[104:105]
	v_fma_f64 v[184:185], v[133:134], s[10:11], v[179:180]
	v_fma_f64 v[179:180], v[133:134], s[10:11], -v[179:180]
	v_add_f64 v[108:109], v[181:182], v[108:109]
	v_mul_lo_u16 v181, v183, 17
	v_add_f64 v[106:107], v[184:185], v[106:107]
	v_add_f64 v[110:111], v[179:180], v[110:111]
	s_and_saveexec_b32 s24, vcc_lo
	s_cbranch_execz .LBB0_7
; %bb.6:
	v_add_f64 v[62:63], v[62:63], v[22:23]
	v_add_f64 v[60:61], v[60:61], v[20:21]
	v_add_f64 v[62:63], v[66:67], v[62:63]
	v_add_f64 v[60:61], v[64:65], v[60:61]
	v_add_f64 v[62:63], v[70:71], v[62:63]
	v_add_f64 v[60:61], v[68:69], v[60:61]
	v_add_f64 v[62:63], v[74:75], v[62:63]
	v_add_f64 v[60:61], v[72:73], v[60:61]
	v_mul_f64 v[74:75], v[195:196], s[22:23]
	v_add_f64 v[62:63], v[78:79], v[62:63]
	v_add_f64 v[60:61], v[76:77], v[60:61]
	v_add_f64 v[74:75], v[74:75], -v[233:234]
	v_mul_f64 v[76:77], v[219:220], s[16:17]
	v_add_f64 v[62:63], v[82:83], v[62:63]
	v_add_f64 v[60:61], v[80:81], v[60:61]
	;; [unrolled: 1-line block ×22, first 2 shown]
	s_clause 0x13
	buffer_load_dword v38, off, s[56:59], 0 offset:92
	buffer_load_dword v39, off, s[56:59], 0 offset:96
	;; [unrolled: 1-line block ×20, first 2 shown]
	v_add_f64 v[32:33], v[36:37], v[32:33]
	v_mul_f64 v[36:37], v[119:120], s[22:23]
	s_waitcnt vmcnt(18)
	v_add_f64 v[36:37], v[38:39], v[36:37]
	v_mul_f64 v[38:39], v[117:118], s[22:23]
	s_waitcnt vmcnt(16)
	v_add_f64 v[38:39], v[38:39], -v[40:41]
	v_mul_f64 v[40:41], v[119:120], s[10:11]
	v_add_f64 v[66:67], v[20:21], v[38:39]
	s_waitcnt vmcnt(14)
	v_add_f64 v[40:41], v[42:43], v[40:41]
	v_mul_f64 v[42:43], v[117:118], s[10:11]
	v_add_f64 v[68:69], v[22:23], v[40:41]
	s_waitcnt vmcnt(12)
	v_add_f64 v[42:43], v[42:43], -v[48:49]
	v_mul_f64 v[48:49], v[119:120], s[14:15]
	v_add_f64 v[70:71], v[20:21], v[42:43]
	s_waitcnt vmcnt(10)
	v_add_f64 v[48:49], v[50:51], v[48:49]
	v_mul_f64 v[50:51], v[117:118], s[14:15]
	v_add_f64 v[40:41], v[22:23], v[48:49]
	s_waitcnt vmcnt(8)
	v_add_f64 v[50:51], v[50:51], -v[52:53]
	v_mul_f64 v[52:53], v[119:120], s[8:9]
	v_mul_f64 v[48:49], v[175:176], s[10:11]
	v_add_f64 v[42:43], v[20:21], v[50:51]
	s_waitcnt vmcnt(6)
	v_add_f64 v[52:53], v[54:55], v[52:53]
	v_mul_f64 v[54:55], v[117:118], s[8:9]
	v_mul_f64 v[50:51], v[151:152], s[14:15]
	v_add_f64 v[48:49], v[211:212], v[48:49]
	s_waitcnt vmcnt(4)
	v_add_f64 v[54:55], v[54:55], -v[60:61]
	v_mul_f64 v[60:61], v[119:120], s[4:5]
	v_add_f64 v[38:39], v[20:21], v[54:55]
	s_waitcnt vmcnt(2)
	v_add_f64 v[60:61], v[62:63], v[60:61]
	v_mul_f64 v[62:63], v[117:118], s[4:5]
	s_waitcnt vmcnt(0)
	v_add_f64 v[62:63], v[62:63], -v[64:65]
	v_add_f64 v[64:65], v[22:23], v[36:37]
	v_add_f64 v[36:37], v[22:23], v[52:53]
	s_clause 0x3
	buffer_load_dword v52, off, s[56:59], 0 offset:252
	buffer_load_dword v53, off, s[56:59], 0 offset:256
	;; [unrolled: 1-line block ×4, first 2 shown]
	v_add_f64 v[22:23], v[22:23], v[60:61]
	s_clause 0x3
	buffer_load_dword v60, off, s[56:59], 0 offset:164
	buffer_load_dword v61, off, s[56:59], 0 offset:168
	;; [unrolled: 1-line block ×4, first 2 shown]
	v_add_f64 v[20:21], v[20:21], v[62:63]
	v_mul_f64 v[62:63], v[149:150], s[14:15]
	s_waitcnt vmcnt(6)
	v_add_f64 v[50:51], v[52:53], v[50:51]
	v_mul_f64 v[52:53], v[115:116], s[8:9]
	s_waitcnt vmcnt(0)
	v_add_f64 v[62:63], v[62:63], -v[72:73]
	v_mul_f64 v[72:73], v[199:200], s[22:23]
	v_add_f64 v[52:53], v[54:55], v[52:53]
	v_mul_f64 v[54:55], v[113:114], s[8:9]
	v_add_f64 v[72:73], v[235:236], v[72:73]
	v_add_f64 v[22:23], v[52:53], v[22:23]
	v_add_f64 v[54:55], v[54:55], -v[60:61]
	v_mul_f64 v[60:61], v[171:172], s[10:11]
	v_mul_f64 v[52:53], v[217:218], s[16:17]
	v_add_f64 v[22:23], v[50:51], v[22:23]
	v_add_f64 v[20:21], v[54:55], v[20:21]
	v_add_f64 v[60:61], v[60:61], -v[209:210]
	v_add_f64 v[52:53], v[52:53], -v[123:124]
	v_mul_f64 v[50:51], v[243:244], s[18:19]
	v_mul_f64 v[54:55], v[133:134], s[20:21]
	v_add_f64 v[22:23], v[48:49], v[22:23]
	v_add_f64 v[20:21], v[62:63], v[20:21]
	v_mul_f64 v[48:49], v[241:242], s[18:19]
	v_add_f64 v[50:51], v[153:154], v[50:51]
	v_add_f64 v[54:55], v[157:158], v[54:55]
	;; [unrolled: 1-line block ×4, first 2 shown]
	v_add_f64 v[48:49], v[48:49], -v[147:148]
	v_mul_f64 v[60:61], v[149:150], s[16:17]
	v_add_f64 v[22:23], v[76:77], v[22:23]
	v_add_f64 v[20:21], v[74:75], v[20:21]
	v_mul_f64 v[74:75], v[195:196], s[18:19]
	v_mul_f64 v[76:77], v[219:220], s[22:23]
	v_add_f64 v[22:23], v[50:51], v[22:23]
	v_add_f64 v[20:21], v[52:53], v[20:21]
	v_mul_f64 v[52:53], v[131:132], s[20:21]
	v_mul_f64 v[50:51], v[151:152], s[16:17]
	v_add_f64 v[74:75], v[74:75], -v[229:230]
	v_add_f64 v[76:77], v[121:122], v[76:77]
	v_add_f64 v[22:23], v[54:55], v[22:23]
	;; [unrolled: 1-line block ×3, first 2 shown]
	v_add_f64 v[52:53], v[52:53], -v[155:156]
	v_mul_f64 v[48:49], v[175:176], s[20:21]
	v_add_f64 v[20:21], v[52:53], v[20:21]
	s_clause 0x7
	buffer_load_dword v52, off, s[56:59], 0 offset:236
	buffer_load_dword v53, off, s[56:59], 0 offset:240
	buffer_load_dword v54, off, s[56:59], 0 offset:156
	buffer_load_dword v55, off, s[56:59], 0 offset:160
	buffer_load_dword v62, off, s[56:59], 0 offset:228
	buffer_load_dword v63, off, s[56:59], 0 offset:232
	buffer_load_dword v72, off, s[56:59], 0 offset:148
	buffer_load_dword v73, off, s[56:59], 0 offset:152
	v_add_f64 v[48:49], v[207:208], v[48:49]
	s_waitcnt vmcnt(6)
	v_add_f64 v[50:51], v[52:53], v[50:51]
	v_mul_f64 v[52:53], v[115:116], s[10:11]
	s_waitcnt vmcnt(2)
	v_add_f64 v[60:61], v[60:61], -v[62:63]
	v_mul_f64 v[62:63], v[113:114], s[10:11]
	v_add_f64 v[52:53], v[54:55], v[52:53]
	v_mul_f64 v[54:55], v[171:172], s[20:21]
	s_waitcnt vmcnt(0)
	v_add_f64 v[62:63], v[62:63], -v[72:73]
	v_mul_f64 v[72:73], v[199:200], s[18:19]
	v_add_f64 v[36:37], v[52:53], v[36:37]
	v_add_f64 v[54:55], v[54:55], -v[205:206]
	v_add_f64 v[38:39], v[62:63], v[38:39]
	v_add_f64 v[72:73], v[231:232], v[72:73]
	v_mul_f64 v[52:53], v[217:218], s[22:23]
	v_mul_f64 v[62:63], v[149:150], s[20:21]
	v_add_f64 v[36:37], v[50:51], v[36:37]
	v_mul_f64 v[50:51], v[243:244], s[14:15]
	v_add_f64 v[38:39], v[60:61], v[38:39]
	v_add_f64 v[52:53], v[52:53], -v[253:254]
	v_add_f64 v[36:37], v[48:49], v[36:37]
	v_add_f64 v[50:51], v[145:146], v[50:51]
	;; [unrolled: 1-line block ×3, first 2 shown]
	v_mul_f64 v[48:49], v[241:242], s[14:15]
	v_mul_f64 v[54:55], v[133:134], s[4:5]
	v_add_f64 v[36:37], v[72:73], v[36:37]
	v_add_f64 v[38:39], v[74:75], v[38:39]
	v_add_f64 v[48:49], v[48:49], -v[143:144]
	v_add_f64 v[54:55], v[161:162], v[54:55]
	v_add_f64 v[36:37], v[76:77], v[36:37]
	v_mul_f64 v[76:77], v[219:220], s[4:5]
	v_add_f64 v[38:39], v[52:53], v[38:39]
	v_mul_f64 v[52:53], v[131:132], s[4:5]
	;; [unrolled: 2-line block ×3, first 2 shown]
	v_add_f64 v[48:49], v[48:49], v[38:39]
	v_add_f64 v[52:53], v[52:53], -v[159:160]
	v_add_f64 v[76:77], v[251:252], v[76:77]
	v_add_f64 v[38:39], v[54:55], v[36:37]
	s_clause 0x7
	buffer_load_dword v54, off, s[56:59], 0 offset:220
	buffer_load_dword v55, off, s[56:59], 0 offset:224
	;; [unrolled: 1-line block ×8, first 2 shown]
	v_add_f64 v[36:37], v[52:53], v[48:49]
	v_mul_f64 v[52:53], v[151:152], s[20:21]
	v_mul_f64 v[48:49], v[199:200], s[8:9]
	v_add_f64 v[50:51], v[203:204], v[50:51]
	v_add_f64 v[48:49], v[227:228], v[48:49]
	s_waitcnt vmcnt(6)
	v_add_f64 v[52:53], v[54:55], v[52:53]
	v_mul_f64 v[54:55], v[115:116], s[16:17]
	s_waitcnt vmcnt(2)
	v_add_f64 v[62:63], v[62:63], -v[72:73]
	v_mul_f64 v[72:73], v[113:114], s[16:17]
	v_add_f64 v[54:55], v[60:61], v[54:55]
	v_mul_f64 v[60:61], v[171:172], s[22:23]
	s_waitcnt vmcnt(0)
	v_add_f64 v[72:73], v[72:73], -v[74:75]
	v_mul_f64 v[74:75], v[195:196], s[8:9]
	v_add_f64 v[40:41], v[54:55], v[40:41]
	v_add_f64 v[60:61], v[60:61], -v[201:202]
	v_add_f64 v[42:43], v[72:73], v[42:43]
	v_add_f64 v[74:75], v[74:75], -v[225:226]
	v_mul_f64 v[54:55], v[217:218], s[4:5]
	v_mul_f64 v[72:73], v[149:150], s[22:23]
	v_add_f64 v[40:41], v[52:53], v[40:41]
	v_mul_f64 v[52:53], v[243:244], s[10:11]
	v_add_f64 v[42:43], v[62:63], v[42:43]
	v_mul_f64 v[62:63], v[171:172], s[4:5]
	v_add_f64 v[54:55], v[54:55], -v[249:250]
	v_add_f64 v[40:41], v[50:51], v[40:41]
	v_mul_f64 v[50:51], v[241:242], s[10:11]
	v_add_f64 v[42:43], v[60:61], v[42:43]
	v_add_f64 v[52:53], v[141:142], v[52:53]
	v_add_f64 v[62:63], v[62:63], -v[193:194]
	v_add_f64 v[40:41], v[48:49], v[40:41]
	v_add_f64 v[50:51], v[50:51], -v[139:140]
	v_add_f64 v[42:43], v[74:75], v[42:43]
	v_mul_f64 v[48:49], v[133:134], s[18:19]
	v_add_f64 v[40:41], v[76:77], v[40:41]
	v_add_f64 v[42:43], v[54:55], v[42:43]
	v_mul_f64 v[54:55], v[131:132], s[18:19]
	v_add_f64 v[48:49], v[165:166], v[48:49]
	;; [unrolled: 3-line block ×3, first 2 shown]
	v_add_f64 v[54:55], v[54:55], -v[163:164]
	v_add_f64 v[42:43], v[48:49], v[40:41]
	v_mul_f64 v[48:49], v[199:200], s[14:15]
	v_add_f64 v[40:41], v[54:55], v[50:51]
	s_clause 0x7
	buffer_load_dword v54, off, s[56:59], 0 offset:204
	buffer_load_dword v55, off, s[56:59], 0 offset:208
	;; [unrolled: 1-line block ×8, first 2 shown]
	v_mul_f64 v[50:51], v[175:176], s[4:5]
	v_add_f64 v[48:49], v[223:224], v[48:49]
	v_add_f64 v[50:51], v[197:198], v[50:51]
	s_waitcnt vmcnt(6)
	v_add_f64 v[52:53], v[54:55], v[52:53]
	v_mul_f64 v[54:55], v[115:116], s[20:21]
	s_waitcnt vmcnt(2)
	v_add_f64 v[72:73], v[72:73], -v[74:75]
	v_mul_f64 v[74:75], v[113:114], s[20:21]
	v_add_f64 v[54:55], v[60:61], v[54:55]
	v_mul_f64 v[60:61], v[195:196], s[14:15]
	s_waitcnt vmcnt(0)
	v_add_f64 v[74:75], v[74:75], -v[76:77]
	v_mul_f64 v[76:77], v[219:220], s[18:19]
	v_add_f64 v[54:55], v[54:55], v[68:69]
	v_add_f64 v[60:61], v[60:61], -v[221:222]
	v_add_f64 v[68:69], v[74:75], v[70:71]
	v_add_f64 v[76:77], v[247:248], v[76:77]
	v_mul_f64 v[70:71], v[217:218], s[18:19]
	v_add_f64 v[52:53], v[52:53], v[54:55]
	v_add_f64 v[54:55], v[72:73], v[68:69]
	v_mul_f64 v[68:69], v[243:244], s[16:17]
	v_add_f64 v[70:71], v[70:71], -v[245:246]
	v_add_f64 v[50:51], v[50:51], v[52:53]
	v_add_f64 v[52:53], v[62:63], v[54:55]
	;; [unrolled: 1-line block ×3, first 2 shown]
	s_clause 0x1
	buffer_load_dword v62, off, s[56:59], 0 offset:188
	buffer_load_dword v63, off, s[56:59], 0 offset:192
	v_mul_f64 v[54:55], v[241:242], s[16:17]
	v_add_f64 v[48:49], v[48:49], v[50:51]
	v_add_f64 v[50:51], v[60:61], v[52:53]
	v_mul_f64 v[52:53], v[133:134], s[8:9]
	v_mul_f64 v[60:61], v[131:132], s[8:9]
	v_add_f64 v[54:55], v[54:55], -v[135:136]
	v_add_f64 v[48:49], v[76:77], v[48:49]
	v_add_f64 v[50:51], v[70:71], v[50:51]
	;; [unrolled: 1-line block ×3, first 2 shown]
	v_add_f64 v[60:61], v[60:61], -v[167:168]
	v_mul_f64 v[70:71], v[171:172], s[14:15]
	v_add_f64 v[48:49], v[68:69], v[48:49]
	s_clause 0x7
	buffer_load_dword v68, off, s[56:59], 0 offset:108
	buffer_load_dword v69, off, s[56:59], 0 offset:112
	;; [unrolled: 1-line block ×8, first 2 shown]
	v_add_f64 v[54:55], v[54:55], v[50:51]
	v_add_f64 v[50:51], v[52:53], v[48:49]
	v_mul_f64 v[52:53], v[199:200], s[20:21]
	v_add_f64 v[48:49], v[60:61], v[54:55]
	v_mul_f64 v[60:61], v[151:152], s[8:9]
	v_mul_f64 v[54:55], v[175:176], s[14:15]
	v_add_f64 v[52:53], v[215:216], v[52:53]
	v_add_f64 v[54:55], v[191:192], v[54:55]
	s_waitcnt vmcnt(8)
	v_add_f64 v[60:61], v[62:63], v[60:61]
	v_mul_f64 v[62:63], v[115:116], s[18:19]
	s_waitcnt vmcnt(6)
	v_add_f64 v[62:63], v[68:69], v[62:63]
	s_waitcnt vmcnt(4)
	v_add_f64 v[70:71], v[70:71], -v[72:73]
	v_mul_f64 v[72:73], v[149:150], s[8:9]
	v_mul_f64 v[68:69], v[195:196], s[20:21]
	v_add_f64 v[62:63], v[62:63], v[64:65]
	s_waitcnt vmcnt(2)
	v_add_f64 v[72:73], v[72:73], -v[74:75]
	v_mul_f64 v[74:75], v[113:114], s[18:19]
	v_add_f64 v[68:69], v[68:69], -v[213:214]
	v_add_f64 v[60:61], v[60:61], v[62:63]
	s_waitcnt vmcnt(0)
	v_add_f64 v[74:75], v[74:75], -v[76:77]
	v_mul_f64 v[76:77], v[219:220], s[10:11]
	v_add_f64 v[54:55], v[54:55], v[60:61]
	v_add_f64 v[64:65], v[74:75], v[66:67]
	v_mul_f64 v[66:67], v[217:218], s[10:11]
	v_add_f64 v[76:77], v[239:240], v[76:77]
	v_add_f64 v[52:53], v[52:53], v[54:55]
	v_add_f64 v[62:63], v[72:73], v[64:65]
	v_add_f64 v[66:67], v[66:67], -v[237:238]
	v_mul_f64 v[64:65], v[243:244], s[4:5]
	v_add_f64 v[52:53], v[76:77], v[52:53]
	v_add_f64 v[60:61], v[70:71], v[62:63]
	v_mul_f64 v[62:63], v[241:242], s[4:5]
	v_add_f64 v[64:65], v[129:130], v[64:65]
	v_add_f64 v[54:55], v[68:69], v[60:61]
	v_add_f64 v[62:63], v[62:63], -v[127:128]
	v_mul_f64 v[60:61], v[133:134], s[16:17]
	v_add_f64 v[52:53], v[64:65], v[52:53]
	v_and_b32_e32 v64, 0xffff, v181
	v_add_f64 v[54:55], v[66:67], v[54:55]
	v_mul_f64 v[66:67], v[131:132], s[16:17]
	v_add_f64 v[60:61], v[177:178], v[60:61]
	v_add_f64 v[62:63], v[62:63], v[54:55]
	v_add_f64 v[66:67], v[66:67], -v[173:174]
	v_add_f64 v[54:55], v[60:61], v[52:53]
	v_add_lshl_u32 v60, v190, v64, 4
	v_add_f64 v[52:53], v[66:67], v[62:63]
	ds_write_b128 v60, v[24:27] offset:96
	ds_write_b128 v60, v[44:47] offset:112
	ds_write_b128 v60, v[104:107] offset:128
	ds_write_b128 v60, v[108:111] offset:144
	ds_write_b128 v60, v[56:59] offset:160
	ds_write_b128 v60, v[28:31] offset:176
	ds_write_b128 v60, v[16:19] offset:192
	ds_write_b128 v60, v[12:15] offset:208
	ds_write_b128 v60, v[8:11] offset:224
	ds_write_b128 v60, v[4:7] offset:240
	ds_write_b128 v60, v[20:23] offset:16
	ds_write_b128 v60, v[36:39] offset:32
	ds_write_b128 v60, v[40:43] offset:48
	ds_write_b128 v60, v[48:51] offset:64
	ds_write_b128 v60, v[52:55] offset:80
	ds_write_b128 v60, v[32:35]
	ds_write_b128 v60, v[0:3] offset:256
.LBB0_7:
	s_or_b32 exec_lo, exec_lo, s24
	v_mad_u64_u32 v[36:37], null, 0x50, v183, s[2:3]
	s_load_dwordx4 s[0:3], s[0:1], 0x0
	s_waitcnt lgkmcnt(0)
	s_barrier
	buffer_gl0_inv
	v_add_lshl_u32 v184, v190, v183, 4
	s_mov_b32 s4, 0xe8584caa
	s_clause 0x4
	global_load_dwordx4 v[20:23], v[36:37], off offset:32
	global_load_dwordx4 v[48:51], v[36:37], off offset:64
	global_load_dwordx4 v[32:35], v[36:37], off
	global_load_dwordx4 v[40:43], v[36:37], off offset:16
	global_load_dwordx4 v[36:39], v[36:37], off offset:48
	ds_read_b128 v[52:55], v184 offset:816
	ds_read_b128 v[60:63], v184 offset:1360
	;; [unrolled: 1-line block ×5, first 2 shown]
	s_mov_b32 s5, 0x3febb67a
	s_mov_b32 s9, 0xbfebb67a
	;; [unrolled: 1-line block ×3, first 2 shown]
	s_waitcnt vmcnt(4) lgkmcnt(4)
	v_mul_f64 v[76:77], v[54:55], v[22:23]
	v_mul_f64 v[78:79], v[52:53], v[22:23]
	s_waitcnt vmcnt(3) lgkmcnt(3)
	v_mul_f64 v[80:81], v[60:61], v[50:51]
	v_mul_f64 v[82:83], v[62:63], v[50:51]
	;; [unrolled: 3-line block ×3, first 2 shown]
	v_fma_f64 v[76:77], v[52:53], v[20:21], -v[76:77]
	v_fma_f64 v[78:79], v[54:55], v[20:21], v[78:79]
	v_fma_f64 v[62:63], v[62:63], v[48:49], v[80:81]
	v_fma_f64 v[60:61], v[60:61], v[48:49], -v[82:83]
	s_waitcnt vmcnt(1) lgkmcnt(1)
	v_mul_f64 v[52:53], v[70:71], v[42:43]
	v_mul_f64 v[54:55], v[68:69], v[42:43]
	s_waitcnt vmcnt(0) lgkmcnt(0)
	v_mul_f64 v[80:81], v[74:75], v[38:39]
	v_mul_f64 v[82:83], v[72:73], v[38:39]
	v_fma_f64 v[64:65], v[64:65], v[32:33], -v[84:85]
	v_fma_f64 v[66:67], v[66:67], v[32:33], v[86:87]
	v_add_f64 v[84:85], v[78:79], v[62:63]
	v_add_f64 v[86:87], v[76:77], v[60:61]
	v_fma_f64 v[68:69], v[68:69], v[40:41], -v[52:53]
	v_fma_f64 v[70:71], v[70:71], v[40:41], v[54:55]
	v_fma_f64 v[72:73], v[72:73], v[36:37], -v[80:81]
	v_fma_f64 v[74:75], v[74:75], v[36:37], v[82:83]
	v_add_f64 v[80:81], v[78:79], -v[62:63]
	v_add_f64 v[82:83], v[76:77], -v[60:61]
	ds_read_b128 v[52:55], v184
	v_fma_f64 v[84:85], v[84:85], -0.5, v[66:67]
	v_fma_f64 v[86:87], v[86:87], -0.5, v[64:65]
	v_add_f64 v[64:65], v[64:65], v[76:77]
	v_add_f64 v[66:67], v[66:67], v[78:79]
	;; [unrolled: 1-line block ×4, first 2 shown]
	v_fma_f64 v[92:93], v[82:83], s[8:9], v[84:85]
	v_fma_f64 v[94:95], v[80:81], s[8:9], v[86:87]
	;; [unrolled: 1-line block ×4, first 2 shown]
	s_waitcnt lgkmcnt(0)
	v_add_f64 v[84:85], v[52:53], v[68:69]
	v_add_f64 v[86:87], v[70:71], -v[74:75]
	v_add_f64 v[70:71], v[54:55], v[70:71]
	v_fma_f64 v[52:53], v[88:89], -0.5, v[52:53]
	v_add_f64 v[68:69], v[68:69], -v[72:73]
	v_fma_f64 v[54:55], v[90:91], -0.5, v[54:55]
	v_add_f64 v[60:61], v[64:65], v[60:61]
	v_add_f64 v[62:63], v[66:67], v[62:63]
	v_mul_f64 v[76:77], v[92:93], s[4:5]
	v_mul_f64 v[78:79], v[94:95], -0.5
	v_mul_f64 v[88:89], v[80:81], s[8:9]
	v_mul_f64 v[90:91], v[82:83], -0.5
	v_add_f64 v[72:73], v[84:85], v[72:73]
	v_add_f64 v[70:71], v[70:71], v[74:75]
	v_fma_f64 v[84:85], v[86:87], s[4:5], v[52:53]
	v_fma_f64 v[86:87], v[86:87], s[8:9], v[52:53]
	;; [unrolled: 1-line block ×4, first 2 shown]
	v_fma_f64 v[68:69], v[80:81], 0.5, v[76:77]
	v_fma_f64 v[80:81], v[82:83], s[4:5], v[78:79]
	v_fma_f64 v[82:83], v[92:93], 0.5, v[88:89]
	v_fma_f64 v[88:89], v[94:95], s[8:9], v[90:91]
	v_add_f64 v[52:53], v[72:73], v[60:61]
	v_add_f64 v[64:65], v[72:73], -v[60:61]
	v_add_f64 v[54:55], v[70:71], v[62:63]
	v_add_f64 v[66:67], v[70:71], -v[62:63]
	v_add_f64 v[76:77], v[84:85], v[68:69]
	v_add_f64 v[72:73], v[86:87], v[80:81]
	v_add_f64 v[60:61], v[86:87], -v[80:81]
	buffer_load_dword v80, off, s[56:59], 0 ; 4-byte Folded Reload
	v_add_f64 v[78:79], v[96:97], v[82:83]
	v_add_f64 v[74:75], v[98:99], v[88:89]
	v_add_f64 v[68:69], v[84:85], -v[68:69]
	v_add_f64 v[70:71], v[96:97], -v[82:83]
	;; [unrolled: 1-line block ×3, first 2 shown]
	s_waitcnt vmcnt(0)
	v_lshl_add_u32 v182, v183, 4, v80
	ds_write_b128 v182, v[52:55]
	ds_write_b128 v182, v[64:67] offset:816
	ds_write_b128 v182, v[76:79] offset:272
	;; [unrolled: 1-line block ×5, first 2 shown]
	s_waitcnt lgkmcnt(0)
	s_barrier
	buffer_gl0_inv
	s_and_saveexec_b32 s8, vcc_lo
	s_cbranch_execz .LBB0_9
; %bb.8:
	global_load_dwordx4 v[80:83], v255, s[6:7] offset:1632
	s_add_u32 s4, s6, 0x660
	s_addc_u32 s5, s7, 0
	s_clause 0xb
	global_load_dwordx4 v[84:87], v255, s[4:5] offset:96
	global_load_dwordx4 v[88:91], v255, s[4:5] offset:192
	;; [unrolled: 1-line block ×12, first 2 shown]
	ds_read_b128 v[141:144], v182
	ds_read_b128 v[145:148], v182 offset:96
	ds_read_b128 v[149:152], v182 offset:192
	s_waitcnt vmcnt(11) lgkmcnt(1)
	v_mul_f64 v[155:156], v[147:148], v[86:87]
	v_mul_f64 v[86:87], v[145:146], v[86:87]
	;; [unrolled: 1-line block ×4, first 2 shown]
	v_fma_f64 v[145:146], v[145:146], v[84:85], -v[155:156]
	v_fma_f64 v[147:148], v[147:148], v[84:85], v[86:87]
	ds_read_b128 v[84:87], v182 offset:384
	v_fma_f64 v[141:142], v[141:142], v[80:81], -v[153:154]
	v_fma_f64 v[143:144], v[143:144], v[80:81], v[82:83]
	ds_read_b128 v[80:83], v182 offset:288
	s_waitcnt vmcnt(10) lgkmcnt(2)
	v_mul_f64 v[153:154], v[151:152], v[90:91]
	v_mul_f64 v[90:91], v[149:150], v[90:91]
	s_waitcnt vmcnt(9) lgkmcnt(0)
	v_mul_f64 v[155:156], v[82:83], v[94:95]
	v_mul_f64 v[94:95], v[80:81], v[94:95]
	v_fma_f64 v[149:150], v[149:150], v[88:89], -v[153:154]
	v_fma_f64 v[151:152], v[151:152], v[88:89], v[90:91]
	ds_read_b128 v[88:91], v182 offset:480
	s_waitcnt vmcnt(8)
	v_mul_f64 v[153:154], v[86:87], v[98:99]
	v_mul_f64 v[98:99], v[84:85], v[98:99]
	v_fma_f64 v[80:81], v[80:81], v[92:93], -v[155:156]
	v_fma_f64 v[82:83], v[82:83], v[92:93], v[94:95]
	ds_read_b128 v[92:95], v182 offset:576
	s_waitcnt vmcnt(7) lgkmcnt(1)
	v_mul_f64 v[155:156], v[90:91], v[102:103]
	v_mul_f64 v[102:103], v[88:89], v[102:103]
	v_fma_f64 v[84:85], v[84:85], v[96:97], -v[153:154]
	v_fma_f64 v[86:87], v[86:87], v[96:97], v[98:99]
	ds_read_b128 v[96:99], v182 offset:672
	s_waitcnt vmcnt(6) lgkmcnt(1)
	;; [unrolled: 6-line block ×5, first 2 shown]
	v_mul_f64 v[157:158], v[115:116], v[127:128]
	v_mul_f64 v[127:128], v[113:114], v[127:128]
	v_fma_f64 v[100:101], v[100:101], v[121:122], -v[153:154]
	v_fma_f64 v[102:103], v[102:103], v[121:122], v[123:124]
	ds_read_b128 v[121:124], v182 offset:1056
	global_load_dwordx4 v[153:156], v255, s[4:5] offset:1248
	v_fma_f64 v[113:114], v[113:114], v[125:126], -v[157:158]
	v_fma_f64 v[115:116], v[115:116], v[125:126], v[127:128]
	s_waitcnt vmcnt(3) lgkmcnt(1)
	v_mul_f64 v[125:126], v[119:120], v[131:132]
	v_mul_f64 v[127:128], v[117:118], v[131:132]
	s_waitcnt vmcnt(2) lgkmcnt(0)
	v_mul_f64 v[157:158], v[123:124], v[135:136]
	v_mul_f64 v[135:136], v[121:122], v[135:136]
	v_fma_f64 v[117:118], v[117:118], v[129:130], -v[125:126]
	v_fma_f64 v[119:120], v[119:120], v[129:130], v[127:128]
	ds_read_b128 v[125:128], v182 offset:1152
	ds_read_b128 v[129:132], v182 offset:1248
	v_fma_f64 v[121:122], v[121:122], v[133:134], -v[157:158]
	v_fma_f64 v[123:124], v[123:124], v[133:134], v[135:136]
	global_load_dwordx4 v[133:136], v255, s[4:5] offset:1344
	s_waitcnt vmcnt(2) lgkmcnt(1)
	v_mul_f64 v[157:158], v[127:128], v[139:140]
	v_mul_f64 v[139:140], v[125:126], v[139:140]
	v_fma_f64 v[125:126], v[125:126], v[137:138], -v[157:158]
	v_fma_f64 v[127:128], v[127:128], v[137:138], v[139:140]
	global_load_dwordx4 v[137:140], v255, s[4:5] offset:1440
	s_waitcnt vmcnt(2) lgkmcnt(0)
	v_mul_f64 v[157:158], v[131:132], v[155:156]
	v_mul_f64 v[155:156], v[129:130], v[155:156]
	v_fma_f64 v[129:130], v[129:130], v[153:154], -v[157:158]
	v_fma_f64 v[131:132], v[131:132], v[153:154], v[155:156]
	ds_read_b128 v[153:156], v182 offset:1344
	ds_read_b128 v[157:160], v182 offset:1440
	s_waitcnt vmcnt(1) lgkmcnt(1)
	v_mul_f64 v[161:162], v[155:156], v[135:136]
	v_mul_f64 v[135:136], v[153:154], v[135:136]
	v_fma_f64 v[153:154], v[153:154], v[133:134], -v[161:162]
	v_fma_f64 v[155:156], v[155:156], v[133:134], v[135:136]
	s_waitcnt vmcnt(0) lgkmcnt(0)
	v_mul_f64 v[133:134], v[159:160], v[139:140]
	v_mul_f64 v[135:136], v[157:158], v[139:140]
	v_fma_f64 v[133:134], v[157:158], v[137:138], -v[133:134]
	v_fma_f64 v[135:136], v[159:160], v[137:138], v[135:136]
	global_load_dwordx4 v[137:140], v255, s[4:5] offset:1536
	ds_read_b128 v[157:160], v182 offset:1536
	s_waitcnt vmcnt(0) lgkmcnt(0)
	v_mul_f64 v[161:162], v[159:160], v[139:140]
	v_mul_f64 v[139:140], v[157:158], v[139:140]
	v_fma_f64 v[157:158], v[157:158], v[137:138], -v[161:162]
	v_fma_f64 v[159:160], v[159:160], v[137:138], v[139:140]
	ds_write_b128 v182, v[141:144]
	ds_write_b128 v182, v[145:148] offset:96
	ds_write_b128 v182, v[149:152] offset:192
	;; [unrolled: 1-line block ×16, first 2 shown]
.LBB0_9:
	s_or_b32 exec_lo, exec_lo, s8
	s_waitcnt lgkmcnt(0)
	s_barrier
	buffer_gl0_inv
	s_and_saveexec_b32 s4, vcc_lo
	s_cbranch_execz .LBB0_11
; %bb.10:
	ds_read_b128 v[52:55], v182
	ds_read_b128 v[76:79], v182 offset:96
	ds_read_b128 v[72:75], v182 offset:192
	;; [unrolled: 1-line block ×16, first 2 shown]
.LBB0_11:
	s_or_b32 exec_lo, exec_lo, s4
	s_waitcnt lgkmcnt(0)
	s_barrier
	buffer_gl0_inv
	s_and_saveexec_b32 s33, vcc_lo
	s_cbranch_execz .LBB0_13
; %bb.12:
	v_add_f64 v[125:126], v[76:77], -v[0:1]
	v_add_f64 v[135:136], v[78:79], -v[2:3]
	s_mov_b32 s8, 0xacd6c6b4
	s_mov_b32 s9, 0xbfc7851a
	v_add_f64 v[131:132], v[72:73], -v[4:5]
	v_add_f64 v[127:128], v[78:79], v[2:3]
	v_add_f64 v[133:134], v[74:75], -v[6:7]
	v_add_f64 v[129:130], v[76:77], v[0:1]
	s_mov_b32 s14, 0x4363dd80
	s_mov_b32 s28, 0x5d8e7cdc
	;; [unrolled: 1-line block ×6, first 2 shown]
	v_add_f64 v[157:158], v[64:65], -v[8:9]
	v_add_f64 v[141:142], v[74:75], v[6:7]
	v_add_f64 v[161:162], v[66:67], -v[10:11]
	v_add_f64 v[163:164], v[72:73], v[4:5]
	s_mov_b32 s10, 0x7c9e640b
	s_mov_b32 s24, 0x910ea3b9
	;; [unrolled: 1-line block ×4, first 2 shown]
	v_mul_f64 v[80:81], v[125:126], s[8:9]
	v_mul_f64 v[82:83], v[135:136], s[8:9]
	;; [unrolled: 1-line block ×5, first 2 shown]
	s_mov_b32 s25, 0xbfeb34fa
	v_mul_f64 v[90:91], v[133:134], s[28:29]
	s_mov_b32 s27, 0x3fedd6d0
	v_add_f64 v[139:140], v[68:69], -v[12:13]
	v_mul_f64 v[96:97], v[131:132], s[10:11]
	v_add_f64 v[151:152], v[66:67], v[10:11]
	v_add_f64 v[173:174], v[70:71], -v[14:15]
	v_add_f64 v[159:160], v[64:65], v[8:9]
	v_mul_f64 v[177:178], v[133:134], s[10:11]
	v_mul_f64 v[100:101], v[157:158], s[14:15]
	s_mov_b32 s54, 0xeb564b22
	v_mul_f64 v[102:103], v[161:162], s[14:15]
	s_mov_b32 s4, 0x2b2883cd
	s_mov_b32 s42, 0x2a9d6da3
	;; [unrolled: 1-line block ×5, first 2 shown]
	v_fma_f64 v[92:93], v[127:128], s[18:19], v[80:81]
	v_fma_f64 v[94:95], v[129:130], s[18:19], -v[82:83]
	v_fma_f64 v[80:81], v[127:128], s[18:19], -v[80:81]
	v_fma_f64 v[82:83], v[129:130], s[18:19], v[82:83]
	v_fma_f64 v[98:99], v[127:128], s[24:25], v[84:85]
	v_fma_f64 v[137:138], v[129:130], s[24:25], -v[86:87]
	v_fma_f64 v[143:144], v[141:142], s[26:27], v[88:89]
	v_fma_f64 v[145:146], v[163:164], s[26:27], -v[90:91]
	s_mov_b32 s30, s54
	s_mov_b32 s43, 0x3fe58eea
	v_add_f64 v[123:124], v[60:61], -v[16:17]
	v_mul_f64 v[179:180], v[157:158], s[30:31]
	v_fma_f64 v[88:89], v[141:142], s[26:27], -v[88:89]
	v_fma_f64 v[90:91], v[163:164], s[26:27], v[90:91]
	v_fma_f64 v[147:148], v[141:142], s[4:5], v[96:97]
	v_add_f64 v[149:150], v[70:71], v[14:15]
	v_add_f64 v[171:172], v[62:63], -v[18:19]
	v_add_f64 v[155:156], v[68:69], v[12:13]
	v_mul_f64 v[153:154], v[139:140], s[42:43]
	v_mul_f64 v[185:186], v[161:162], s[30:31]
	v_fma_f64 v[165:166], v[163:164], s[4:5], -v[177:178]
	v_mul_f64 v[169:170], v[173:174], s[42:43]
	v_add_f64 v[92:93], v[54:55], v[92:93]
	v_add_f64 v[94:95], v[52:53], v[94:95]
	;; [unrolled: 1-line block ×6, first 2 shown]
	v_fma_f64 v[175:176], v[151:152], s[24:25], v[100:101]
	v_fma_f64 v[187:188], v[159:160], s[24:25], -v[102:103]
	s_mov_b32 s16, 0x3259b75e
	s_mov_b32 s20, 0x6c9a05f6
	;; [unrolled: 1-line block ×8, first 2 shown]
	v_add_f64 v[121:122], v[24:25], -v[28:29]
	v_add_f64 v[119:120], v[62:63], v[18:19]
	v_fma_f64 v[100:101], v[151:152], s[24:25], -v[100:101]
	v_fma_f64 v[102:103], v[159:160], s[24:25], v[102:103]
	v_add_f64 v[167:168], v[26:27], -v[30:31]
	v_mul_f64 v[189:190], v[173:174], s[46:47]
	v_add_f64 v[92:93], v[143:144], v[92:93]
	v_add_f64 v[94:95], v[145:146], v[94:95]
	v_add_f64 v[80:81], v[88:89], v[80:81]
	v_mul_f64 v[88:89], v[139:140], s[46:47]
	v_fma_f64 v[143:144], v[151:152], s[16:17], v[179:180]
	v_add_f64 v[82:83], v[90:91], v[82:83]
	v_add_f64 v[90:91], v[147:148], v[98:99]
	;; [unrolled: 1-line block ×3, first 2 shown]
	v_mul_f64 v[98:99], v[123:124], s[20:21]
	v_fma_f64 v[191:192], v[159:160], s[16:17], -v[185:186]
	v_add_f64 v[165:166], v[165:166], v[137:138]
	v_mul_f64 v[193:194], v[171:172], s[20:21]
	v_fma_f64 v[195:196], v[149:150], s[38:39], v[153:154]
	v_fma_f64 v[197:198], v[155:156], s[38:39], -v[169:170]
	s_mov_b32 s22, 0x6ed5f1bb
	s_mov_b32 s23, 0xbfe348c8
	;; [unrolled: 1-line block ×4, first 2 shown]
	v_add_f64 v[117:118], v[44:45], -v[56:57]
	v_fma_f64 v[199:200], v[149:150], s[38:39], -v[153:154]
	v_add_f64 v[147:148], v[26:27], v[30:31]
	v_add_f64 v[153:154], v[24:25], v[28:29]
	;; [unrolled: 1-line block ×5, first 2 shown]
	v_mul_f64 v[100:101], v[123:124], s[40:41]
	v_fma_f64 v[175:176], v[155:156], s[38:39], v[169:170]
	v_fma_f64 v[187:188], v[149:150], s[22:23], v[88:89]
	v_add_f64 v[82:83], v[102:103], v[82:83]
	v_add_f64 v[90:91], v[143:144], v[90:91]
	v_add_f64 v[169:170], v[46:47], -v[58:59]
	v_mul_f64 v[102:103], v[121:122], s[10:11]
	v_mul_f64 v[201:202], v[171:172], s[40:41]
	v_fma_f64 v[203:204], v[155:156], s[22:23], -v[189:190]
	v_add_f64 v[191:192], v[191:192], v[165:166]
	v_mul_f64 v[205:206], v[167:168], s[10:11]
	v_fma_f64 v[207:208], v[119:120], s[22:23], v[98:99]
	v_fma_f64 v[209:210], v[145:146], s[22:23], -v[193:194]
	s_mov_b32 s36, 0x923c349f
	s_mov_b32 s37, 0xbfeec746
	v_add_f64 v[115:116], v[104:105], -v[108:109]
	v_add_f64 v[137:138], v[46:47], v[58:59]
	v_fma_f64 v[98:99], v[119:120], s[22:23], -v[98:99]
	v_fma_f64 v[193:194], v[145:146], s[22:23], v[193:194]
	v_add_f64 v[92:93], v[195:196], v[92:93]
	v_add_f64 v[94:95], v[197:198], v[94:95]
	;; [unrolled: 1-line block ×3, first 2 shown]
	v_mul_f64 v[195:196], v[121:122], s[8:9]
	v_fma_f64 v[84:85], v[127:128], s[24:25], -v[84:85]
	v_fma_f64 v[197:198], v[119:120], s[26:27], v[100:101]
	v_add_f64 v[82:83], v[175:176], v[82:83]
	v_add_f64 v[90:91], v[187:188], v[90:91]
	v_add_f64 v[175:176], v[106:107], -v[110:111]
	v_add_f64 v[165:166], v[44:45], v[56:57]
	v_mul_f64 v[187:188], v[117:118], s[36:37]
	v_mul_f64 v[199:200], v[167:168], s[8:9]
	v_fma_f64 v[211:212], v[145:146], s[26:27], -v[201:202]
	v_add_f64 v[191:192], v[203:204], v[191:192]
	v_mul_f64 v[203:204], v[169:170], s[36:37]
	v_fma_f64 v[213:214], v[147:148], s[4:5], v[102:103]
	v_fma_f64 v[215:216], v[153:154], s[4:5], -v[205:206]
	s_mov_b32 s34, 0xc61f0d01
	s_mov_b32 s35, 0xbfd183b1
	v_add_f64 v[113:114], v[106:107], v[110:111]
	v_add_f64 v[143:144], v[104:105], v[108:109]
	v_fma_f64 v[102:103], v[147:148], s[4:5], -v[102:103]
	v_add_f64 v[92:93], v[207:208], v[92:93]
	v_add_f64 v[94:95], v[209:210], v[94:95]
	v_add_f64 v[80:81], v[98:99], v[80:81]
	v_fma_f64 v[98:99], v[153:154], s[4:5], v[205:206]
	v_fma_f64 v[96:97], v[141:142], s[4:5], -v[96:97]
	v_add_f64 v[84:85], v[54:55], v[84:85]
	v_add_f64 v[82:83], v[193:194], v[82:83]
	v_mul_f64 v[193:194], v[117:118], s[42:43]
	v_fma_f64 v[205:206], v[147:148], s[18:19], v[195:196]
	v_add_f64 v[90:91], v[197:198], v[90:91]
	v_mul_f64 v[197:198], v[115:116], s[54:55]
	v_mul_f64 v[207:208], v[175:176], s[54:55]
	;; [unrolled: 1-line block ×4, first 2 shown]
	v_fma_f64 v[221:222], v[153:154], s[18:19], -v[199:200]
	v_add_f64 v[191:192], v[211:212], v[191:192]
	v_mul_f64 v[211:212], v[135:136], s[20:21]
	v_fma_f64 v[223:224], v[137:138], s[34:35], v[187:188]
	v_fma_f64 v[225:226], v[165:166], s[34:35], -v[203:204]
	s_mov_b32 s45, 0x3feec746
	s_mov_b32 s44, s36
	v_mul_f64 v[209:210], v[115:116], s[36:37]
	v_add_f64 v[92:93], v[213:214], v[92:93]
	v_add_f64 v[94:95], v[215:216], v[94:95]
	v_fma_f64 v[187:188], v[137:138], s[34:35], -v[187:188]
	v_add_f64 v[80:81], v[102:103], v[80:81]
	v_fma_f64 v[102:103], v[165:166], s[34:35], v[203:204]
	v_fma_f64 v[179:180], v[151:152], s[16:17], -v[179:180]
	v_add_f64 v[84:85], v[96:97], v[84:85]
	v_add_f64 v[82:83], v[98:99], v[82:83]
	v_fma_f64 v[96:97], v[137:138], s[38:39], v[193:194]
	v_fma_f64 v[86:87], v[129:130], s[24:25], v[86:87]
	v_add_f64 v[90:91], v[205:206], v[90:91]
	v_mul_f64 v[98:99], v[175:176], s[36:37]
	v_mul_f64 v[203:204], v[131:132], s[44:45]
	;; [unrolled: 1-line block ×3, first 2 shown]
	v_fma_f64 v[213:214], v[113:114], s[16:17], v[197:198]
	v_fma_f64 v[215:216], v[143:144], s[16:17], -v[207:208]
	v_fma_f64 v[227:228], v[165:166], s[38:39], -v[217:218]
	v_add_f64 v[191:192], v[221:222], v[191:192]
	v_fma_f64 v[221:222], v[127:128], s[22:23], v[219:220]
	v_fma_f64 v[197:198], v[113:114], s[16:17], -v[197:198]
	v_fma_f64 v[207:208], v[143:144], s[16:17], v[207:208]
	v_fma_f64 v[229:230], v[113:114], s[34:35], v[209:210]
	v_add_f64 v[92:93], v[223:224], v[92:93]
	v_add_f64 v[94:95], v[225:226], v[94:95]
	v_fma_f64 v[223:224], v[129:130], s[22:23], -v[211:212]
	v_add_f64 v[187:188], v[187:188], v[80:81]
	v_fma_f64 v[88:89], v[149:150], s[22:23], -v[88:89]
	v_fma_f64 v[177:178], v[163:164], s[4:5], v[177:178]
	v_add_f64 v[84:85], v[179:180], v[84:85]
	v_add_f64 v[102:103], v[102:103], v[82:83]
	v_mul_f64 v[179:180], v[157:158], s[40:41]
	v_add_f64 v[86:87], v[52:53], v[86:87]
	v_add_f64 v[96:97], v[96:97], v[90:91]
	v_mul_f64 v[225:226], v[161:162], s[40:41]
	v_mul_f64 v[231:232], v[125:126], s[36:37]
	v_fma_f64 v[233:234], v[143:144], s[34:35], -v[98:99]
	v_fma_f64 v[219:220], v[127:128], s[22:23], -v[219:220]
	v_fma_f64 v[211:212], v[129:130], s[22:23], v[211:212]
	s_mov_b32 s49, 0x3fe0d888
	v_add_f64 v[191:192], v[227:228], v[191:192]
	v_fma_f64 v[227:228], v[141:142], s[34:35], v[203:204]
	v_add_f64 v[221:222], v[54:55], v[221:222]
	s_mov_b32 s48, s14
	v_fma_f64 v[100:101], v[119:120], s[26:27], -v[100:101]
	v_add_f64 v[82:83], v[213:214], v[92:93]
	v_add_f64 v[80:81], v[215:216], v[94:95]
	v_fma_f64 v[92:93], v[163:164], s[34:35], -v[205:206]
	v_add_f64 v[94:95], v[52:53], v[223:224]
	v_add_f64 v[90:91], v[197:198], v[187:188]
	v_mul_f64 v[197:198], v[131:132], s[48:49]
	v_add_f64 v[187:188], v[88:89], v[84:85]
	v_add_f64 v[88:89], v[207:208], v[102:103]
	v_fma_f64 v[102:103], v[159:160], s[16:17], v[185:186]
	v_add_f64 v[177:178], v[177:178], v[86:87]
	v_add_f64 v[86:87], v[229:230], v[96:97]
	v_fma_f64 v[96:97], v[141:142], s[34:35], -v[203:204]
	v_mul_f64 v[185:186], v[135:136], s[36:37]
	v_fma_f64 v[203:204], v[127:128], s[34:35], -v[231:232]
	v_add_f64 v[207:208], v[54:55], v[219:220]
	v_fma_f64 v[213:214], v[151:152], s[26:27], v[179:180]
	v_fma_f64 v[205:206], v[163:164], s[34:35], v[205:206]
	v_add_f64 v[84:85], v[233:234], v[191:192]
	v_mul_f64 v[191:192], v[139:140], s[14:15]
	v_add_f64 v[215:216], v[227:228], v[221:222]
	v_add_f64 v[211:212], v[52:53], v[211:212]
	v_mul_f64 v[219:220], v[173:174], s[14:15]
	v_fma_f64 v[221:222], v[159:160], s[26:27], -v[225:226]
	v_fma_f64 v[179:180], v[151:152], s[26:27], -v[179:180]
	s_mov_b32 s53, 0xbfe58eea
	v_add_f64 v[92:93], v[92:93], v[94:95]
	s_mov_b32 s52, s42
	v_fma_f64 v[227:228], v[141:142], s[24:25], -v[197:198]
	v_add_f64 v[94:95], v[100:101], v[187:188]
	v_fma_f64 v[100:101], v[145:146], s[26:27], v[201:202]
	v_fma_f64 v[187:188], v[155:156], s[22:23], v[189:190]
	v_add_f64 v[102:103], v[102:103], v[177:178]
	v_fma_f64 v[177:178], v[127:128], s[34:35], v[231:232]
	v_mul_f64 v[201:202], v[133:134], s[48:49]
	v_fma_f64 v[223:224], v[129:130], s[34:35], -v[185:186]
	v_add_f64 v[203:204], v[54:55], v[203:204]
	v_add_f64 v[96:97], v[96:97], v[207:208]
	v_mul_f64 v[207:208], v[123:124], s[54:55]
	v_fma_f64 v[195:196], v[147:148], s[18:19], -v[195:196]
	v_fma_f64 v[197:198], v[141:142], s[24:25], v[197:198]
	v_fma_f64 v[229:230], v[149:150], s[24:25], v[191:192]
	v_add_f64 v[213:214], v[213:214], v[215:216]
	v_fma_f64 v[215:216], v[159:160], s[26:27], v[225:226]
	v_add_f64 v[205:206], v[205:206], v[211:212]
	v_mul_f64 v[211:212], v[171:172], s[54:55]
	v_fma_f64 v[225:226], v[155:156], s[24:25], -v[219:220]
	v_fma_f64 v[191:192], v[149:150], s[24:25], -v[191:192]
	v_add_f64 v[92:93], v[221:222], v[92:93]
	v_mul_f64 v[231:232], v[161:162], s[42:43]
	v_fma_f64 v[219:220], v[155:156], s[24:25], v[219:220]
	v_mul_f64 v[189:190], v[157:158], s[42:43]
	v_fma_f64 v[193:194], v[137:138], s[38:39], -v[193:194]
	s_mov_b32 s51, 0xbfeca52d
	v_add_f64 v[102:103], v[187:188], v[102:103]
	v_add_f64 v[177:178], v[54:55], v[177:178]
	v_fma_f64 v[233:234], v[163:164], s[24:25], -v[201:202]
	v_add_f64 v[223:224], v[52:53], v[223:224]
	v_add_f64 v[203:204], v[227:228], v[203:204]
	;; [unrolled: 1-line block ×3, first 2 shown]
	v_mul_f64 v[179:180], v[121:122], s[52:53]
	v_fma_f64 v[187:188], v[119:120], s[16:17], v[207:208]
	v_add_f64 v[94:95], v[195:196], v[94:95]
	v_fma_f64 v[195:196], v[153:154], s[18:19], v[199:200]
	v_add_f64 v[213:214], v[229:230], v[213:214]
	v_fma_f64 v[199:200], v[119:120], s[16:17], -v[207:208]
	v_add_f64 v[205:206], v[215:216], v[205:206]
	v_mul_f64 v[215:216], v[167:168], s[52:53]
	v_fma_f64 v[227:228], v[145:146], s[16:17], -v[211:212]
	v_fma_f64 v[211:212], v[145:146], s[16:17], v[211:212]
	v_add_f64 v[92:93], v[225:226], v[92:93]
	v_fma_f64 v[225:226], v[159:160], s[38:39], -v[231:232]
	s_mov_b32 s50, s10
	v_fma_f64 v[235:236], v[151:152], s[38:39], -v[189:190]
	v_mul_f64 v[221:222], v[139:140], s[50:51]
	v_fma_f64 v[185:186], v[129:130], s[34:35], v[185:186]
	v_add_f64 v[100:101], v[100:101], v[102:103]
	v_add_f64 v[177:178], v[197:198], v[177:178]
	v_mul_f64 v[197:198], v[123:124], s[8:9]
	v_add_f64 v[223:224], v[233:234], v[223:224]
	v_mul_f64 v[102:103], v[117:118], s[8:9]
	v_add_f64 v[96:97], v[191:192], v[96:97]
	v_fma_f64 v[191:192], v[147:148], s[38:39], v[179:180]
	v_fma_f64 v[189:190], v[151:152], s[38:39], v[189:190]
	v_add_f64 v[94:95], v[193:194], v[94:95]
	v_fma_f64 v[193:194], v[165:166], s[38:39], v[217:218]
	v_add_f64 v[187:188], v[187:188], v[213:214]
	v_mul_f64 v[213:214], v[169:170], s[8:9]
	v_add_f64 v[205:206], v[219:220], v[205:206]
	v_fma_f64 v[219:220], v[153:154], s[38:39], -v[215:216]
	v_mul_f64 v[207:208], v[173:174], s[50:51]
	v_fma_f64 v[201:202], v[163:164], s[24:25], v[201:202]
	v_add_f64 v[92:93], v[227:228], v[92:93]
	v_fma_f64 v[179:180], v[147:148], s[38:39], -v[179:180]
	v_fma_f64 v[209:210], v[113:114], s[34:35], -v[209:210]
	v_add_f64 v[203:204], v[235:236], v[203:204]
	v_fma_f64 v[229:230], v[149:150], s[4:5], -v[221:222]
	v_add_f64 v[185:186], v[52:53], v[185:186]
	v_add_f64 v[100:101], v[195:196], v[100:101]
	v_fma_f64 v[217:218], v[149:150], s[4:5], v[221:222]
	v_mul_f64 v[221:222], v[171:172], s[8:9]
	v_add_f64 v[223:224], v[225:226], v[223:224]
	v_fma_f64 v[225:226], v[119:120], s[18:19], -v[197:198]
	v_add_f64 v[96:97], v[199:200], v[96:97]
	v_fma_f64 v[199:200], v[137:138], s[18:19], v[102:103]
	v_add_f64 v[177:178], v[189:190], v[177:178]
	v_mul_f64 v[189:190], v[121:122], s[54:55]
	v_mul_f64 v[195:196], v[115:116], s[10:11]
	v_add_f64 v[187:188], v[191:192], v[187:188]
	v_fma_f64 v[191:192], v[153:154], s[38:39], v[215:216]
	v_add_f64 v[205:206], v[211:212], v[205:206]
	v_fma_f64 v[215:216], v[165:166], s[18:19], -v[213:214]
	v_fma_f64 v[227:228], v[155:156], s[4:5], -v[207:208]
	v_mul_f64 v[211:212], v[175:176], s[10:11]
	v_add_f64 v[92:93], v[219:220], v[92:93]
	v_fma_f64 v[219:220], v[143:144], s[34:35], v[98:99]
	v_fma_f64 v[98:99], v[137:138], s[18:19], -v[102:103]
	v_fma_f64 v[102:103], v[119:120], s[18:19], v[197:198]
	v_mul_f64 v[197:198], v[125:126], s[30:31]
	v_add_f64 v[203:204], v[229:230], v[203:204]
	v_add_f64 v[100:101], v[193:194], v[100:101]
	v_fma_f64 v[193:194], v[165:166], s[18:19], v[213:214]
	v_add_f64 v[185:186], v[201:202], v[185:186]
	v_mul_f64 v[229:230], v[167:168], s[54:55]
	v_fma_f64 v[233:234], v[145:146], s[18:19], -v[221:222]
	v_add_f64 v[96:97], v[179:180], v[96:97]
	v_mul_f64 v[213:214], v[135:136], s[30:31]
	v_add_f64 v[177:178], v[217:218], v[177:178]
	v_mul_f64 v[217:218], v[117:118], s[40:41]
	v_add_f64 v[78:79], v[78:79], v[54:55]
	v_fma_f64 v[179:180], v[113:114], s[4:5], v[195:196]
	v_add_f64 v[187:188], v[199:200], v[187:188]
	v_add_f64 v[191:192], v[191:192], v[205:206]
	v_mul_f64 v[205:206], v[131:132], s[8:9]
	v_add_f64 v[223:224], v[227:228], v[223:224]
	v_fma_f64 v[227:228], v[147:148], s[16:17], -v[189:190]
	v_add_f64 v[92:93], v[215:216], v[92:93]
	v_fma_f64 v[199:200], v[143:144], s[4:5], -v[211:212]
	v_fma_f64 v[195:196], v[113:114], s[4:5], -v[195:196]
	v_fma_f64 v[189:190], v[147:148], s[16:17], v[189:190]
	v_fma_f64 v[215:216], v[127:128], s[16:17], v[197:198]
	v_add_f64 v[203:204], v[225:226], v[203:204]
	v_mul_f64 v[225:226], v[169:170], s[40:41]
	v_fma_f64 v[231:232], v[159:160], s[38:39], v[231:232]
	v_fma_f64 v[197:198], v[127:128], s[16:17], -v[197:198]
	v_fma_f64 v[235:236], v[153:154], s[16:17], -v[229:230]
	s_mov_b32 s55, 0x3fc7851a
	s_mov_b32 s54, s8
	v_fma_f64 v[237:238], v[129:130], s[16:17], -v[213:214]
	v_add_f64 v[102:103], v[102:103], v[177:178]
	v_mul_f64 v[177:178], v[115:116], s[20:21]
	v_add_f64 v[74:75], v[74:75], v[78:79]
	v_fma_f64 v[213:214], v[129:130], s[16:17], v[213:214]
	v_add_f64 v[191:192], v[193:194], v[191:192]
	v_fma_f64 v[193:194], v[141:142], s[18:19], v[205:206]
	v_add_f64 v[223:224], v[233:234], v[223:224]
	v_fma_f64 v[233:234], v[137:138], s[26:27], -v[217:218]
	v_fma_f64 v[205:206], v[141:142], s[18:19], -v[205:206]
	v_add_f64 v[92:93], v[199:200], v[92:93]
	v_mul_f64 v[199:200], v[175:176], s[20:21]
	v_add_f64 v[201:202], v[54:55], v[215:216]
	v_add_f64 v[203:204], v[227:228], v[203:204]
	;; [unrolled: 1-line block ×4, first 2 shown]
	v_fma_f64 v[209:210], v[143:144], s[4:5], v[211:212]
	v_mul_f64 v[211:212], v[133:134], s[8:9]
	v_add_f64 v[96:97], v[219:220], v[100:101]
	v_add_f64 v[94:95], v[179:180], v[187:188]
	v_mul_f64 v[187:188], v[157:158], s[44:45]
	v_fma_f64 v[179:180], v[137:138], s[26:27], v[217:218]
	v_add_f64 v[189:190], v[189:190], v[102:103]
	v_fma_f64 v[215:216], v[165:166], s[26:27], -v[225:226]
	v_fma_f64 v[219:220], v[113:114], s[22:23], -v[177:178]
	v_add_f64 v[185:186], v[231:232], v[185:186]
	v_mul_f64 v[231:232], v[135:136], s[50:51]
	v_add_f64 v[66:67], v[66:67], v[74:75]
	v_add_f64 v[217:218], v[235:236], v[223:224]
	;; [unrolled: 1-line block ×3, first 2 shown]
	v_fma_f64 v[177:178], v[113:114], s[22:23], v[177:178]
	v_fma_f64 v[235:236], v[143:144], s[22:23], -v[199:200]
	v_add_f64 v[193:194], v[193:194], v[201:202]
	v_add_f64 v[201:202], v[76:77], v[52:53]
	;; [unrolled: 1-line block ×4, first 2 shown]
	v_fma_f64 v[195:196], v[155:156], s[4:5], v[207:208]
	v_mul_f64 v[207:208], v[161:162], s[44:45]
	v_fma_f64 v[223:224], v[163:164], s[18:19], -v[211:212]
	v_mul_f64 v[227:228], v[125:126], s[50:51]
	v_add_f64 v[233:234], v[52:53], v[237:238]
	v_add_f64 v[100:101], v[209:210], v[191:192]
	v_mul_f64 v[191:192], v[139:140], s[28:29]
	v_fma_f64 v[209:210], v[151:152], s[34:35], v[187:188]
	v_add_f64 v[179:180], v[179:180], v[189:190]
	v_mul_f64 v[189:190], v[173:174], s[28:29]
	v_mul_f64 v[237:238], v[133:134], s[20:21]
	v_fma_f64 v[239:240], v[129:130], s[4:5], -v[231:232]
	v_add_f64 v[215:216], v[215:216], v[217:218]
	v_add_f64 v[66:67], v[70:71], v[66:67]
	v_fma_f64 v[187:188], v[151:152], s[34:35], -v[187:188]
	v_add_f64 v[197:198], v[205:206], v[197:198]
	v_mul_f64 v[205:206], v[171:172], s[50:51]
	v_fma_f64 v[78:79], v[163:164], s[18:19], v[211:212]
	v_add_f64 v[211:212], v[52:53], v[213:214]
	v_add_f64 v[72:73], v[72:73], v[201:202]
	;; [unrolled: 1-line block ×3, first 2 shown]
	v_fma_f64 v[203:204], v[145:146], s[18:19], v[221:222]
	v_mul_f64 v[219:220], v[131:132], s[20:21]
	v_fma_f64 v[217:218], v[159:160], s[34:35], -v[207:208]
	v_add_f64 v[185:186], v[195:196], v[185:186]
	v_fma_f64 v[221:222], v[127:128], s[4:5], v[227:228]
	v_add_f64 v[223:224], v[223:224], v[233:234]
	v_fma_f64 v[195:196], v[153:154], s[16:17], v[229:230]
	v_mul_f64 v[229:230], v[123:124], s[50:51]
	v_fma_f64 v[233:234], v[149:150], s[26:27], v[191:192]
	v_add_f64 v[193:194], v[209:210], v[193:194]
	v_fma_f64 v[209:210], v[155:156], s[26:27], -v[189:190]
	v_fma_f64 v[201:202], v[127:128], s[4:5], -v[227:228]
	v_mul_f64 v[213:214], v[157:158], s[54:55]
	v_fma_f64 v[241:242], v[163:164], s[22:23], -v[237:238]
	v_add_f64 v[239:240], v[52:53], v[239:240]
	v_add_f64 v[62:63], v[62:63], v[66:67]
	v_fma_f64 v[191:192], v[149:150], s[26:27], -v[191:192]
	v_add_f64 v[187:188], v[187:188], v[197:198]
	v_fma_f64 v[207:208], v[159:160], s[34:35], v[207:208]
	v_add_f64 v[78:79], v[78:79], v[211:212]
	v_add_f64 v[64:65], v[64:65], v[72:73]
	v_fma_f64 v[72:73], v[145:146], s[4:5], -v[205:206]
	v_mul_f64 v[211:212], v[139:140], s[44:45]
	v_fma_f64 v[227:228], v[141:142], s[22:23], v[219:220]
	v_fma_f64 v[74:75], v[141:142], s[22:23], -v[219:220]
	v_add_f64 v[185:186], v[203:204], v[185:186]
	v_add_f64 v[221:222], v[54:55], v[221:222]
	;; [unrolled: 1-line block ×3, first 2 shown]
	v_fma_f64 v[203:204], v[165:166], s[26:27], v[225:226]
	v_mul_f64 v[225:226], v[161:162], s[54:55]
	v_mul_f64 v[223:224], v[121:122], s[14:15]
	v_fma_f64 v[197:198], v[119:120], s[4:5], v[229:230]
	v_add_f64 v[193:194], v[233:234], v[193:194]
	v_mul_f64 v[233:234], v[167:168], s[14:15]
	v_add_f64 v[201:202], v[54:55], v[201:202]
	v_fma_f64 v[219:220], v[151:152], s[18:19], v[213:214]
	v_add_f64 v[239:240], v[241:242], v[239:240]
	v_add_f64 v[26:27], v[26:27], v[62:63]
	v_fma_f64 v[70:71], v[151:152], s[18:19], -v[213:214]
	v_add_f64 v[187:188], v[191:192], v[187:188]
	v_fma_f64 v[189:190], v[155:156], s[26:27], v[189:190]
	v_add_f64 v[78:79], v[207:208], v[78:79]
	v_add_f64 v[64:65], v[68:69], v[64:65]
	v_fma_f64 v[207:208], v[149:150], s[34:35], v[211:212]
	v_fma_f64 v[66:67], v[149:150], s[34:35], -v[211:212]
	v_add_f64 v[185:186], v[195:196], v[185:186]
	v_add_f64 v[221:222], v[227:228], v[221:222]
	;; [unrolled: 1-line block ×3, first 2 shown]
	v_fma_f64 v[217:218], v[129:130], s[4:5], v[231:232]
	v_fma_f64 v[227:228], v[119:120], s[4:5], -v[229:230]
	v_mul_f64 v[229:230], v[173:174], s[44:45]
	v_fma_f64 v[231:232], v[159:160], s[18:19], -v[225:226]
	v_fma_f64 v[191:192], v[147:148], s[24:25], v[223:224]
	v_add_f64 v[193:194], v[197:198], v[193:194]
	v_mul_f64 v[197:198], v[169:170], s[46:47]
	v_fma_f64 v[68:69], v[153:154], s[24:25], -v[233:234]
	v_add_f64 v[74:75], v[74:75], v[201:202]
	v_mul_f64 v[201:202], v[123:124], s[42:43]
	v_add_f64 v[26:27], v[46:47], v[26:27]
	v_mul_f64 v[195:196], v[117:118], s[46:47]
	v_mul_f64 v[46:47], v[135:136], s[52:53]
	v_add_f64 v[78:79], v[189:190], v[78:79]
	v_add_f64 v[60:61], v[60:61], v[64:65]
	v_mul_f64 v[189:190], v[121:122], s[40:41]
	v_add_f64 v[185:186], v[203:204], v[185:186]
	v_add_f64 v[213:214], v[219:220], v[221:222]
	;; [unrolled: 1-line block ×3, first 2 shown]
	v_fma_f64 v[219:220], v[163:164], s[22:23], v[237:238]
	v_add_f64 v[217:218], v[52:53], v[217:218]
	v_fma_f64 v[221:222], v[147:148], s[24:25], -v[223:224]
	v_mul_f64 v[223:224], v[171:172], s[42:43]
	v_fma_f64 v[237:238], v[155:156], s[34:35], -v[229:230]
	v_add_f64 v[231:232], v[231:232], v[239:240]
	v_add_f64 v[187:188], v[227:228], v[187:188]
	v_fma_f64 v[64:65], v[165:166], s[22:23], -v[197:198]
	v_add_f64 v[70:71], v[70:71], v[74:75]
	v_fma_f64 v[74:75], v[145:146], s[4:5], v[205:206]
	v_fma_f64 v[205:206], v[119:120], s[38:39], v[201:202]
	v_add_f64 v[26:27], v[106:107], v[26:27]
	v_fma_f64 v[227:228], v[137:138], s[22:23], v[195:196]
	v_fma_f64 v[195:196], v[137:138], s[22:23], -v[195:196]
	v_add_f64 v[24:25], v[24:25], v[60:61]
	v_fma_f64 v[62:63], v[119:120], s[38:39], -v[201:202]
	v_fma_f64 v[201:202], v[147:148], s[26:27], v[189:190]
	v_add_f64 v[191:192], v[191:192], v[193:194]
	v_fma_f64 v[189:190], v[147:148], s[26:27], -v[189:190]
	v_fma_f64 v[106:107], v[129:130], s[38:39], v[46:47]
	v_add_f64 v[207:208], v[207:208], v[213:214]
	v_add_f64 v[68:69], v[68:69], v[72:73]
	v_fma_f64 v[72:73], v[143:144], s[22:23], v[199:200]
	v_fma_f64 v[199:200], v[159:160], s[18:19], v[225:226]
	v_add_f64 v[211:212], v[219:220], v[217:218]
	v_mul_f64 v[213:214], v[167:168], s[40:41]
	v_fma_f64 v[217:218], v[145:146], s[38:39], -v[223:224]
	v_add_f64 v[219:220], v[237:238], v[231:232]
	v_add_f64 v[187:188], v[221:222], v[187:188]
	v_fma_f64 v[46:47], v[129:130], s[38:39], -v[46:47]
	v_add_f64 v[66:67], v[66:67], v[70:71]
	v_fma_f64 v[70:71], v[153:154], s[24:25], v[233:234]
	v_add_f64 v[74:75], v[74:75], v[78:79]
	v_add_f64 v[26:27], v[110:111], v[26:27]
	v_mul_f64 v[78:79], v[117:118], s[30:31]
	v_mul_f64 v[209:210], v[115:116], s[42:43]
	v_add_f64 v[24:25], v[44:45], v[24:25]
	v_mul_f64 v[44:45], v[135:136], s[40:41]
	v_mul_f64 v[193:194], v[175:176], s[42:43]
	v_add_f64 v[191:192], v[227:228], v[191:192]
	v_mul_f64 v[227:228], v[161:162], s[20:21]
	v_add_f64 v[106:107], v[52:53], v[106:107]
	v_add_f64 v[205:206], v[205:206], v[207:208]
	;; [unrolled: 1-line block ×3, first 2 shown]
	v_mul_f64 v[68:69], v[125:126], s[52:53]
	v_fma_f64 v[207:208], v[155:156], s[34:35], v[229:230]
	v_add_f64 v[199:200], v[199:200], v[211:212]
	v_fma_f64 v[221:222], v[153:154], s[26:27], -v[213:214]
	v_mul_f64 v[125:126], v[125:126], s[40:41]
	v_add_f64 v[217:218], v[217:218], v[219:220]
	v_mul_f64 v[211:212], v[169:170], s[30:31]
	v_add_f64 v[187:188], v[195:196], v[187:188]
	v_add_f64 v[62:63], v[62:63], v[66:67]
	v_fma_f64 v[66:67], v[165:166], s[22:23], v[197:198]
	v_mul_f64 v[197:198], v[131:132], s[30:31]
	v_mul_f64 v[131:132], v[131:132], s[52:53]
	v_add_f64 v[26:27], v[26:27], v[58:59]
	v_add_f64 v[46:47], v[52:53], v[46:47]
	;; [unrolled: 1-line block ×3, first 2 shown]
	v_fma_f64 v[104:105], v[129:130], s[26:27], v[44:45]
	v_fma_f64 v[44:45], v[129:130], s[26:27], -v[44:45]
	v_mul_f64 v[129:130], v[161:162], s[50:51]
	v_add_f64 v[70:71], v[70:71], v[74:75]
	v_mul_f64 v[74:75], v[115:116], s[14:15]
	v_add_f64 v[195:196], v[201:202], v[205:206]
	v_fma_f64 v[205:206], v[145:146], s[38:39], v[223:224]
	v_fma_f64 v[201:202], v[127:128], s[38:39], -v[68:69]
	v_fma_f64 v[68:69], v[127:128], s[38:39], v[68:69]
	v_add_f64 v[199:200], v[207:208], v[199:200]
	v_mul_f64 v[207:208], v[133:134], s[30:31]
	v_mul_f64 v[133:134], v[133:134], s[52:53]
	v_add_f64 v[217:218], v[221:222], v[217:218]
	v_fma_f64 v[221:222], v[127:128], s[26:27], -v[125:126]
	v_fma_f64 v[223:224], v[165:166], s[16:17], -v[211:212]
	v_add_f64 v[62:63], v[189:190], v[62:63]
	v_fma_f64 v[189:190], v[165:166], s[16:17], v[211:212]
	v_fma_f64 v[211:212], v[153:154], s[26:27], v[213:214]
	v_mul_f64 v[213:214], v[157:158], s[20:21]
	v_fma_f64 v[225:226], v[141:142], s[16:17], -v[197:198]
	v_fma_f64 v[125:126], v[127:128], s[26:27], v[125:126]
	v_add_f64 v[24:25], v[108:109], v[24:25]
	v_mul_f64 v[127:128], v[157:158], s[50:51]
	v_fma_f64 v[157:158], v[141:142], s[38:39], -v[131:132]
	v_add_f64 v[104:105], v[52:53], v[104:105]
	v_fma_f64 v[110:111], v[141:142], s[16:17], v[197:198]
	v_add_f64 v[26:27], v[26:27], v[30:31]
	v_mul_f64 v[108:109], v[139:140], s[8:9]
	v_mul_f64 v[197:198], v[173:174], s[8:9]
	v_add_f64 v[201:202], v[54:55], v[201:202]
	v_add_f64 v[68:69], v[54:55], v[68:69]
	;; [unrolled: 1-line block ×3, first 2 shown]
	v_fma_f64 v[205:206], v[163:164], s[16:17], v[207:208]
	v_fma_f64 v[207:208], v[163:164], s[16:17], -v[207:208]
	v_mul_f64 v[139:140], v[139:140], s[30:31]
	v_add_f64 v[161:162], v[54:55], v[221:222]
	v_fma_f64 v[221:222], v[163:164], s[38:39], v[133:134]
	v_fma_f64 v[131:132], v[141:142], s[38:39], v[131:132]
	v_add_f64 v[44:45], v[52:53], v[44:45]
	v_mul_f64 v[52:53], v[173:174], s[30:31]
	v_fma_f64 v[229:230], v[151:152], s[22:23], -v[213:214]
	v_fma_f64 v[135:136], v[137:138], s[16:17], v[78:79]
	v_add_f64 v[54:55], v[54:55], v[125:126]
	v_add_f64 v[24:25], v[56:57], v[24:25]
	v_fma_f64 v[125:126], v[163:164], s[38:39], -v[133:134]
	v_fma_f64 v[133:134], v[151:152], s[4:5], -v[127:128]
	v_fma_f64 v[127:128], v[151:152], s[4:5], v[127:128]
	v_mul_f64 v[219:220], v[175:176], s[14:15]
	v_add_f64 v[18:19], v[26:27], v[18:19]
	v_fma_f64 v[163:164], v[149:150], s[18:19], -v[108:109]
	v_fma_f64 v[78:79], v[137:138], s[16:17], -v[78:79]
	v_add_f64 v[201:202], v[225:226], v[201:202]
	v_fma_f64 v[225:226], v[159:160], s[22:23], v[227:228]
	v_add_f64 v[68:69], v[110:111], v[68:69]
	v_add_f64 v[58:59], v[205:206], v[106:107]
	v_fma_f64 v[106:107], v[151:152], s[22:23], v[213:214]
	v_add_f64 v[46:47], v[207:208], v[46:47]
	;; [unrolled: 3-line block ×3, first 2 shown]
	v_fma_f64 v[161:162], v[159:160], s[22:23], -v[227:228]
	v_mul_f64 v[104:105], v[123:124], s[48:49]
	v_mul_f64 v[110:111], v[171:172], s[48:49]
	v_fma_f64 v[129:130], v[159:160], s[4:5], -v[129:130]
	v_add_f64 v[54:55], v[131:132], v[54:55]
	v_add_f64 v[24:25], v[28:29], v[24:25]
	;; [unrolled: 1-line block ×3, first 2 shown]
	v_mul_f64 v[125:126], v[171:172], s[36:37]
	v_fma_f64 v[131:132], v[149:150], s[16:17], -v[139:140]
	v_mul_f64 v[123:124], v[123:124], s[36:37]
	v_add_f64 v[14:15], v[18:19], v[14:15]
	v_fma_f64 v[139:140], v[149:150], s[16:17], v[139:140]
	v_add_f64 v[62:63], v[78:79], v[62:63]
	v_add_f64 v[173:174], v[229:230], v[201:202]
	v_fma_f64 v[201:202], v[155:156], s[18:19], v[197:198]
	v_fma_f64 v[78:79], v[143:144], s[24:25], v[219:220]
	v_add_f64 v[30:31], v[225:226], v[58:59]
	v_fma_f64 v[58:59], v[149:150], s[18:19], v[108:109]
	v_add_f64 v[68:69], v[106:107], v[68:69]
	v_add_f64 v[133:134], v[133:134], v[141:142]
	v_fma_f64 v[141:142], v[155:156], s[16:17], v[52:53]
	v_add_f64 v[28:29], v[157:158], v[56:57]
	v_fma_f64 v[108:109], v[155:156], s[18:19], -v[197:198]
	v_add_f64 v[46:47], v[161:162], v[46:47]
	v_mul_f64 v[106:107], v[167:168], s[44:45]
	v_fma_f64 v[151:152], v[119:120], s[24:25], -v[104:105]
	v_mul_f64 v[56:57], v[121:122], s[44:45]
	v_add_f64 v[16:17], v[24:25], v[16:17]
	v_add_f64 v[54:55], v[127:128], v[54:55]
	v_fma_f64 v[52:53], v[155:156], s[16:17], -v[52:53]
	v_add_f64 v[44:45], v[129:130], v[44:45]
	v_mul_f64 v[121:122], v[121:122], s[20:21]
	v_add_f64 v[10:11], v[14:15], v[10:11]
	v_mul_f64 v[127:128], v[167:168], s[20:21]
	v_fma_f64 v[129:130], v[119:120], s[34:35], -v[123:124]
	v_add_f64 v[157:158], v[163:164], v[173:174]
	v_fma_f64 v[159:160], v[145:146], s[24:25], v[110:111]
	v_fma_f64 v[203:204], v[113:114], s[38:39], v[209:210]
	v_add_f64 v[26:27], v[201:202], v[30:31]
	v_fma_f64 v[30:31], v[119:120], s[24:25], v[104:105]
	v_add_f64 v[58:59], v[58:59], v[68:69]
	v_add_f64 v[131:132], v[131:132], v[133:134]
	v_fma_f64 v[133:134], v[145:146], s[34:35], v[125:126]
	v_add_f64 v[24:25], v[141:142], v[28:29]
	v_fma_f64 v[104:105], v[145:146], s[24:25], -v[110:111]
	v_add_f64 v[46:47], v[108:109], v[46:47]
	v_mul_f64 v[28:29], v[117:118], s[10:11]
	v_fma_f64 v[119:120], v[119:120], s[34:35], v[123:124]
	v_fma_f64 v[108:109], v[147:148], s[34:35], -v[56:57]
	v_add_f64 v[12:13], v[16:17], v[12:13]
	v_add_f64 v[54:55], v[139:140], v[54:55]
	v_fma_f64 v[123:124], v[145:146], s[34:35], -v[125:126]
	v_add_f64 v[44:45], v[52:53], v[44:45]
	v_mul_f64 v[117:118], v[117:118], s[14:15]
	v_add_f64 v[6:7], v[10:11], v[6:7]
	v_mul_f64 v[52:53], v[169:170], s[14:15]
	v_fma_f64 v[125:126], v[147:148], s[22:23], -v[121:122]
	v_add_f64 v[110:111], v[151:152], v[157:158]
	v_mul_f64 v[68:69], v[169:170], s[10:11]
	v_fma_f64 v[141:142], v[153:154], s[34:35], v[106:107]
	v_add_f64 v[18:19], v[159:160], v[26:27]
	v_fma_f64 v[26:27], v[147:148], s[34:35], v[56:57]
	v_add_f64 v[30:31], v[30:31], v[58:59]
	v_fma_f64 v[58:59], v[153:154], s[34:35], -v[106:107]
	v_add_f64 v[129:130], v[129:130], v[131:132]
	v_add_f64 v[16:17], v[133:134], v[24:25]
	v_mul_f64 v[24:25], v[115:116], s[28:29]
	v_add_f64 v[46:47], v[104:105], v[46:47]
	v_fma_f64 v[131:132], v[153:154], s[22:23], v[127:128]
	v_fma_f64 v[104:105], v[137:138], s[4:5], -v[28:29]
	v_mul_f64 v[56:57], v[175:176], s[28:29]
	v_add_f64 v[8:9], v[12:13], v[8:9]
	v_add_f64 v[54:55], v[119:120], v[54:55]
	v_fma_f64 v[119:120], v[153:154], s[22:23], -v[127:128]
	v_add_f64 v[44:45], v[123:124], v[44:45]
	v_fma_f64 v[123:124], v[137:138], s[24:25], -v[117:118]
	v_fma_f64 v[28:29], v[137:138], s[4:5], v[28:29]
	v_fma_f64 v[127:128], v[165:166], s[24:25], v[52:53]
	v_fma_f64 v[52:53], v[165:166], s[24:25], -v[52:53]
	v_add_f64 v[106:107], v[108:109], v[110:111]
	v_mul_f64 v[110:111], v[115:116], s[8:9]
	v_fma_f64 v[115:116], v[147:148], s[22:23], v[121:122]
	v_mul_f64 v[121:122], v[175:176], s[8:9]
	v_fma_f64 v[108:109], v[165:166], s[4:5], v[68:69]
	v_add_f64 v[14:15], v[141:142], v[18:19]
	v_add_f64 v[26:27], v[26:27], v[30:31]
	;; [unrolled: 1-line block ×3, first 2 shown]
	v_fma_f64 v[30:31], v[165:166], s[4:5], -v[68:69]
	v_fma_f64 v[133:134], v[113:114], s[26:27], v[24:25]
	v_add_f64 v[46:47], v[58:59], v[46:47]
	v_fma_f64 v[58:59], v[113:114], s[26:27], -v[24:25]
	v_add_f64 v[12:13], v[131:132], v[16:17]
	v_add_f64 v[16:17], v[211:212], v[199:200]
	;; [unrolled: 1-line block ×3, first 2 shown]
	v_fma_f64 v[18:19], v[113:114], s[24:25], -v[74:75]
	v_fma_f64 v[60:61], v[143:144], s[38:39], -v[193:194]
	v_add_f64 v[44:45], v[119:120], v[44:45]
	v_fma_f64 v[209:210], v[113:114], s[38:39], -v[209:210]
	v_fma_f64 v[193:194], v[143:144], s[38:39], v[193:194]
	v_add_f64 v[66:67], v[66:67], v[70:71]
	v_fma_f64 v[70:71], v[113:114], s[24:25], v[74:75]
	v_add_f64 v[68:69], v[104:105], v[106:107]
	;; [unrolled: 2-line block ×3, first 2 shown]
	v_fma_f64 v[115:116], v[113:114], s[18:19], -v[110:111]
	v_fma_f64 v[119:120], v[143:144], s[18:19], v[121:122]
	v_fma_f64 v[106:107], v[143:144], s[26:27], v[56:57]
	v_add_f64 v[108:109], v[108:109], v[14:15]
	v_add_f64 v[117:118], v[123:124], v[125:126]
	v_fma_f64 v[129:130], v[143:144], s[24:25], -v[219:220]
	v_add_f64 v[131:132], v[223:224], v[217:218]
	v_fma_f64 v[56:57], v[143:144], s[26:27], -v[56:57]
	v_add_f64 v[137:138], v[30:31], v[46:47]
	v_add_f64 v[123:124], v[127:128], v[12:13]
	;; [unrolled: 1-line block ×4, first 2 shown]
	buffer_load_dword v1, off, s[56:59], 0  ; 4-byte Folded Reload
	v_add_f64 v[127:128], v[135:136], v[195:196]
	v_add_f64 v[135:136], v[28:29], v[26:27]
	v_fma_f64 v[110:111], v[113:114], s[18:19], v[110:111]
	v_fma_f64 v[113:114], v[143:144], s[18:19], -v[121:122]
	v_add_f64 v[121:122], v[52:53], v[44:45]
	v_add_f64 v[26:27], v[6:7], v[2:3]
	;; [unrolled: 1-line block ×12, first 2 shown]
	v_and_b32_e32 v0, 0xffff, v181
	v_add_f64 v[46:47], v[203:204], v[191:192]
	v_add_f64 v[14:15], v[119:120], v[123:124]
	;; [unrolled: 1-line block ×10, first 2 shown]
	s_waitcnt vmcnt(0)
	v_lshl_add_u32 v0, v0, 4, v1
	ds_write_b128 v0, v[24:27]
	ds_write_b128 v0, v[14:17] offset:16
	ds_write_b128 v0, v[10:13] offset:32
	;; [unrolled: 1-line block ×16, first 2 shown]
.LBB0_13:
	s_or_b32 exec_lo, exec_lo, s33
	s_waitcnt lgkmcnt(0)
	s_barrier
	buffer_gl0_inv
	ds_read_b128 v[0:3], v184 offset:816
	ds_read_b128 v[4:7], v184 offset:1360
	;; [unrolled: 1-line block ×5, first 2 shown]
	s_mov_b32 s4, 0xe8584caa
	s_mov_b32 s5, 0xbfebb67a
	;; [unrolled: 1-line block ×4, first 2 shown]
	s_waitcnt lgkmcnt(4)
	v_mul_f64 v[24:25], v[22:23], v[0:1]
	s_waitcnt lgkmcnt(3)
	v_mul_f64 v[26:27], v[50:51], v[4:5]
	;; [unrolled: 2-line block ×3, first 2 shown]
	v_mul_f64 v[22:23], v[22:23], v[2:3]
	v_mul_f64 v[30:31], v[50:51], v[6:7]
	v_fma_f64 v[24:25], v[20:21], v[2:3], -v[24:25]
	v_fma_f64 v[6:7], v[48:49], v[6:7], -v[26:27]
	v_mul_f64 v[2:3], v[34:35], v[10:11]
	s_waitcnt lgkmcnt(1)
	v_mul_f64 v[26:27], v[42:43], v[14:15]
	v_mul_f64 v[34:35], v[42:43], v[12:13]
	s_waitcnt lgkmcnt(0)
	v_mul_f64 v[42:43], v[38:39], v[18:19]
	v_mul_f64 v[38:39], v[38:39], v[16:17]
	v_fma_f64 v[20:21], v[20:21], v[0:1], v[22:23]
	v_fma_f64 v[4:5], v[48:49], v[4:5], v[30:31]
	v_fma_f64 v[10:11], v[32:33], v[10:11], -v[28:29]
	v_add_f64 v[0:1], v[24:25], v[6:7]
	v_fma_f64 v[8:9], v[32:33], v[8:9], v[2:3]
	v_fma_f64 v[12:13], v[40:41], v[12:13], v[26:27]
	v_fma_f64 v[14:15], v[40:41], v[14:15], -v[34:35]
	v_fma_f64 v[16:17], v[36:37], v[16:17], v[42:43]
	v_fma_f64 v[18:19], v[36:37], v[18:19], -v[38:39]
	v_add_f64 v[34:35], v[24:25], -v[6:7]
	v_add_f64 v[22:23], v[20:21], v[4:5]
	v_add_f64 v[26:27], v[20:21], -v[4:5]
	v_fma_f64 v[28:29], v[0:1], -0.5, v[10:11]
	ds_read_b128 v[0:3], v184
	v_add_f64 v[10:11], v[10:11], v[24:25]
	v_add_f64 v[30:31], v[12:13], v[16:17]
	;; [unrolled: 1-line block ×3, first 2 shown]
	v_add_f64 v[38:39], v[14:15], -v[18:19]
	v_fma_f64 v[22:23], v[22:23], -0.5, v[8:9]
	v_add_f64 v[8:9], v[8:9], v[20:21]
	s_waitcnt lgkmcnt(0)
	v_add_f64 v[14:15], v[2:3], v[14:15]
	v_fma_f64 v[36:37], v[26:27], s[8:9], v[28:29]
	v_fma_f64 v[26:27], v[26:27], s[4:5], v[28:29]
	v_add_f64 v[28:29], v[0:1], v[12:13]
	v_add_f64 v[12:13], v[12:13], -v[16:17]
	v_fma_f64 v[0:1], v[30:31], -0.5, v[0:1]
	v_fma_f64 v[2:3], v[32:33], -0.5, v[2:3]
	v_add_f64 v[6:7], v[10:11], v[6:7]
	v_fma_f64 v[20:21], v[34:35], s[4:5], v[22:23]
	v_fma_f64 v[22:23], v[34:35], s[8:9], v[22:23]
	v_add_f64 v[4:5], v[8:9], v[4:5]
	v_add_f64 v[14:15], v[14:15], v[18:19]
	v_mul_f64 v[24:25], v[36:37], s[4:5]
	v_mul_f64 v[32:33], v[36:37], 0.5
	v_mul_f64 v[30:31], v[26:27], s[4:5]
	v_mul_f64 v[26:27], v[26:27], -0.5
	v_add_f64 v[16:17], v[28:29], v[16:17]
	v_fma_f64 v[18:19], v[38:39], s[4:5], v[0:1]
	v_fma_f64 v[34:35], v[12:13], s[8:9], v[2:3]
	;; [unrolled: 1-line block ×4, first 2 shown]
	v_add_f64 v[2:3], v[14:15], v[6:7]
	v_fma_f64 v[24:25], v[20:21], 0.5, v[24:25]
	v_fma_f64 v[32:33], v[20:21], s[8:9], v[32:33]
	v_fma_f64 v[30:31], v[22:23], -0.5, v[30:31]
	v_fma_f64 v[22:23], v[22:23], s[8:9], v[26:27]
	v_add_f64 v[0:1], v[16:17], v[4:5]
	v_add_f64 v[4:5], v[16:17], -v[4:5]
	v_add_f64 v[6:7], v[14:15], -v[6:7]
	v_add_f64 v[8:9], v[18:19], v[24:25]
	v_add_f64 v[10:11], v[34:35], v[32:33]
	;; [unrolled: 1-line block ×4, first 2 shown]
	v_add_f64 v[16:17], v[18:19], -v[24:25]
	v_add_f64 v[18:19], v[34:35], -v[32:33]
	;; [unrolled: 1-line block ×4, first 2 shown]
	ds_write_b128 v182, v[0:3]
	ds_write_b128 v182, v[4:7] offset:816
	ds_write_b128 v182, v[8:11] offset:272
	;; [unrolled: 1-line block ×5, first 2 shown]
	s_waitcnt lgkmcnt(0)
	s_barrier
	buffer_gl0_inv
	s_and_b32 exec_lo, exec_lo, vcc_lo
	s_cbranch_execz .LBB0_15
; %bb.14:
	global_load_dwordx4 v[0:3], v255, s[6:7]
	ds_read_b128 v[4:7], v182
	ds_read_b128 v[8:11], v182 offset:96
	v_mad_u64_u32 v[14:15], null, s2, v112, 0
	s_mul_i32 s4, s1, 0x60
	s_mul_hi_u32 s8, s0, 0x60
	s_mul_i32 s5, s0, 0x60
	s_add_i32 s4, s8, s4
	s_mul_i32 s8, s1, 0xc0
	s_mul_hi_u32 s10, s0, 0xc0
	s_mul_i32 s9, s0, 0xc0
	s_add_i32 s8, s10, s8
	s_waitcnt vmcnt(0) lgkmcnt(1)
	v_mul_f64 v[12:13], v[6:7], v[2:3]
	v_mul_f64 v[2:3], v[4:5], v[2:3]
	v_fma_f64 v[4:5], v[4:5], v[0:1], v[12:13]
	v_fma_f64 v[0:1], v[0:1], v[6:7], -v[2:3]
	v_mad_u64_u32 v[6:7], null, s0, v183, 0
	v_mov_b32_e32 v2, v15
	v_mov_b32_e32 v3, v7
	v_mad_u64_u32 v[12:13], null, s3, v112, v[2:3]
	s_mov_b32 s2, 0x14141414
	s_mov_b32 s3, 0x3f841414
	v_mad_u64_u32 v[16:17], null, s1, v183, v[3:4]
	v_mov_b32_e32 v15, v12
	v_mul_f64 v[2:3], v[4:5], s[2:3]
	v_mul_f64 v[4:5], v[0:1], s[2:3]
	v_lshlrev_b64 v[0:1], 4, v[14:15]
	v_mov_b32_e32 v7, v16
	v_add_co_u32 v0, vcc_lo, s12, v0
	v_lshlrev_b64 v[6:7], 4, v[6:7]
	v_add_co_ci_u32_e32 v1, vcc_lo, s13, v1, vcc_lo
	v_add_co_u32 v6, vcc_lo, v0, v6
	v_add_co_ci_u32_e32 v7, vcc_lo, v1, v7, vcc_lo
	v_add_co_u32 v14, vcc_lo, v6, s5
	global_store_dwordx4 v[6:7], v[2:5], off
	global_load_dwordx4 v[2:5], v255, s[6:7] offset:96
	v_add_co_ci_u32_e32 v15, vcc_lo, s4, v7, vcc_lo
	s_waitcnt vmcnt(0) lgkmcnt(0)
	v_mul_f64 v[12:13], v[10:11], v[4:5]
	v_mul_f64 v[4:5], v[8:9], v[4:5]
	v_fma_f64 v[8:9], v[8:9], v[2:3], v[12:13]
	v_fma_f64 v[4:5], v[2:3], v[10:11], -v[4:5]
	v_mul_f64 v[2:3], v[8:9], s[2:3]
	v_mul_f64 v[4:5], v[4:5], s[2:3]
	global_store_dwordx4 v[14:15], v[2:5], off
	global_load_dwordx4 v[2:5], v255, s[6:7] offset:192
	ds_read_b128 v[6:9], v182 offset:192
	ds_read_b128 v[10:13], v182 offset:288
	s_waitcnt vmcnt(0) lgkmcnt(1)
	v_mul_f64 v[16:17], v[8:9], v[4:5]
	v_mul_f64 v[4:5], v[6:7], v[4:5]
	v_fma_f64 v[6:7], v[6:7], v[2:3], v[16:17]
	v_fma_f64 v[4:5], v[2:3], v[8:9], -v[4:5]
	v_mul_f64 v[2:3], v[6:7], s[2:3]
	v_mul_f64 v[4:5], v[4:5], s[2:3]
	v_add_co_u32 v6, vcc_lo, v14, s5
	v_add_co_ci_u32_e32 v7, vcc_lo, s4, v15, vcc_lo
	v_add_co_u32 v14, vcc_lo, v6, s5
	v_add_co_ci_u32_e32 v15, vcc_lo, s4, v7, vcc_lo
	global_store_dwordx4 v[6:7], v[2:5], off
	global_load_dwordx4 v[2:5], v255, s[6:7] offset:288
	s_waitcnt vmcnt(0) lgkmcnt(0)
	v_mul_f64 v[8:9], v[12:13], v[4:5]
	v_mul_f64 v[4:5], v[10:11], v[4:5]
	v_fma_f64 v[8:9], v[10:11], v[2:3], v[8:9]
	v_fma_f64 v[4:5], v[2:3], v[12:13], -v[4:5]
	v_mul_f64 v[2:3], v[8:9], s[2:3]
	v_mul_f64 v[4:5], v[4:5], s[2:3]
	global_store_dwordx4 v[14:15], v[2:5], off
	global_load_dwordx4 v[2:5], v255, s[6:7] offset:384
	ds_read_b128 v[6:9], v182 offset:384
	ds_read_b128 v[10:13], v182 offset:480
	s_waitcnt vmcnt(0) lgkmcnt(1)
	v_mul_f64 v[16:17], v[8:9], v[4:5]
	v_mul_f64 v[4:5], v[6:7], v[4:5]
	v_fma_f64 v[6:7], v[6:7], v[2:3], v[16:17]
	v_fma_f64 v[4:5], v[2:3], v[8:9], -v[4:5]
	buffer_load_dword v3, off, s[56:59], 0 offset:16 ; 4-byte Folded Reload
	v_mul_f64 v[4:5], v[4:5], s[2:3]
	s_waitcnt vmcnt(0)
	v_mad_u64_u32 v[8:9], null, s0, v3, 0
	v_mov_b32_e32 v2, v9
	v_mad_u64_u32 v[16:17], null, s1, v3, v[2:3]
	v_mul_f64 v[2:3], v[6:7], s[2:3]
	v_mov_b32_e32 v9, v16
	v_lshlrev_b64 v[6:7], 4, v[8:9]
	v_add_co_u32 v6, vcc_lo, v0, v6
	v_add_co_ci_u32_e32 v7, vcc_lo, v1, v7, vcc_lo
	v_add_co_u32 v14, vcc_lo, v14, s9
	v_add_co_ci_u32_e32 v15, vcc_lo, s8, v15, vcc_lo
	global_store_dwordx4 v[6:7], v[2:5], off
	global_load_dwordx4 v[2:5], v255, s[6:7] offset:480
	s_waitcnt vmcnt(0) lgkmcnt(0)
	v_mul_f64 v[6:7], v[12:13], v[4:5]
	v_mul_f64 v[4:5], v[10:11], v[4:5]
	v_fma_f64 v[6:7], v[10:11], v[2:3], v[6:7]
	v_fma_f64 v[4:5], v[2:3], v[12:13], -v[4:5]
	v_mul_f64 v[2:3], v[6:7], s[2:3]
	v_mul_f64 v[4:5], v[4:5], s[2:3]
	global_store_dwordx4 v[14:15], v[2:5], off
	global_load_dwordx4 v[2:5], v255, s[6:7] offset:576
	ds_read_b128 v[6:9], v182 offset:576
	ds_read_b128 v[10:13], v182 offset:672
	s_waitcnt vmcnt(0) lgkmcnt(1)
	v_mul_f64 v[16:17], v[8:9], v[4:5]
	v_mul_f64 v[4:5], v[6:7], v[4:5]
	v_fma_f64 v[6:7], v[6:7], v[2:3], v[16:17]
	v_fma_f64 v[4:5], v[2:3], v[8:9], -v[4:5]
	v_mul_f64 v[2:3], v[6:7], s[2:3]
	v_mul_f64 v[4:5], v[4:5], s[2:3]
	v_add_co_u32 v6, vcc_lo, v14, s5
	v_add_co_ci_u32_e32 v7, vcc_lo, s4, v15, vcc_lo
	v_add_co_u32 v14, vcc_lo, v6, s5
	v_add_co_ci_u32_e32 v15, vcc_lo, s4, v7, vcc_lo
	global_store_dwordx4 v[6:7], v[2:5], off
	global_load_dwordx4 v[2:5], v255, s[6:7] offset:672
	s_waitcnt vmcnt(0) lgkmcnt(0)
	v_mul_f64 v[8:9], v[12:13], v[4:5]
	v_mul_f64 v[4:5], v[10:11], v[4:5]
	v_fma_f64 v[8:9], v[10:11], v[2:3], v[8:9]
	v_fma_f64 v[4:5], v[2:3], v[12:13], -v[4:5]
	v_mul_f64 v[2:3], v[8:9], s[2:3]
	v_mul_f64 v[4:5], v[4:5], s[2:3]
	global_store_dwordx4 v[14:15], v[2:5], off
	global_load_dwordx4 v[2:5], v255, s[6:7] offset:768
	ds_read_b128 v[6:9], v182 offset:768
	ds_read_b128 v[10:13], v182 offset:864
	s_waitcnt vmcnt(0) lgkmcnt(1)
	v_mul_f64 v[16:17], v[8:9], v[4:5]
	v_mul_f64 v[4:5], v[6:7], v[4:5]
	v_fma_f64 v[6:7], v[6:7], v[2:3], v[16:17]
	v_fma_f64 v[4:5], v[2:3], v[8:9], -v[4:5]
	buffer_load_dword v3, off, s[56:59], 0 offset:12 ; 4-byte Folded Reload
	v_mul_f64 v[4:5], v[4:5], s[2:3]
	s_waitcnt vmcnt(0)
	v_mad_u64_u32 v[8:9], null, s0, v3, 0
	v_mov_b32_e32 v2, v9
	v_mad_u64_u32 v[16:17], null, s1, v3, v[2:3]
	v_mul_f64 v[2:3], v[6:7], s[2:3]
	v_mov_b32_e32 v9, v16
	v_lshlrev_b64 v[6:7], 4, v[8:9]
	v_add_co_u32 v6, vcc_lo, v0, v6
	v_add_co_ci_u32_e32 v7, vcc_lo, v1, v7, vcc_lo
	v_add_co_u32 v14, vcc_lo, v14, s9
	v_add_co_ci_u32_e32 v15, vcc_lo, s8, v15, vcc_lo
	global_store_dwordx4 v[6:7], v[2:5], off
	global_load_dwordx4 v[2:5], v255, s[6:7] offset:864
	;; [unrolled: 55-line block ×3, first 2 shown]
	s_waitcnt vmcnt(0) lgkmcnt(0)
	v_mul_f64 v[6:7], v[12:13], v[4:5]
	v_mul_f64 v[4:5], v[10:11], v[4:5]
	v_fma_f64 v[6:7], v[10:11], v[2:3], v[6:7]
	v_fma_f64 v[4:5], v[2:3], v[12:13], -v[4:5]
	v_mul_f64 v[2:3], v[6:7], s[2:3]
	v_mul_f64 v[4:5], v[4:5], s[2:3]
	global_store_dwordx4 v[14:15], v[2:5], off
	global_load_dwordx4 v[2:5], v255, s[6:7] offset:1344
	ds_read_b128 v[6:9], v182 offset:1344
	ds_read_b128 v[10:13], v182 offset:1440
	s_waitcnt vmcnt(0) lgkmcnt(1)
	v_mul_f64 v[16:17], v[8:9], v[4:5]
	v_mul_f64 v[4:5], v[6:7], v[4:5]
	v_fma_f64 v[6:7], v[6:7], v[2:3], v[16:17]
	v_fma_f64 v[4:5], v[2:3], v[8:9], -v[4:5]
	v_mul_f64 v[2:3], v[6:7], s[2:3]
	v_mul_f64 v[4:5], v[4:5], s[2:3]
	v_add_co_u32 v6, vcc_lo, v14, s5
	v_add_co_ci_u32_e32 v7, vcc_lo, s4, v15, vcc_lo
	global_store_dwordx4 v[6:7], v[2:5], off
	global_load_dwordx4 v[2:5], v255, s[6:7] offset:1440
	v_add_co_u32 v6, vcc_lo, v6, s5
	v_add_co_ci_u32_e32 v7, vcc_lo, s4, v7, vcc_lo
	s_waitcnt vmcnt(0) lgkmcnt(0)
	v_mul_f64 v[8:9], v[12:13], v[4:5]
	v_mul_f64 v[4:5], v[10:11], v[4:5]
	v_fma_f64 v[8:9], v[10:11], v[2:3], v[8:9]
	v_fma_f64 v[4:5], v[2:3], v[12:13], -v[4:5]
	v_mul_f64 v[2:3], v[8:9], s[2:3]
	v_mul_f64 v[4:5], v[4:5], s[2:3]
	global_store_dwordx4 v[6:7], v[2:5], off
	global_load_dwordx4 v[2:5], v255, s[6:7] offset:1536
	ds_read_b128 v[6:9], v182 offset:1536
	s_waitcnt vmcnt(0) lgkmcnt(0)
	v_mul_f64 v[10:11], v[8:9], v[4:5]
	v_mul_f64 v[4:5], v[6:7], v[4:5]
	v_fma_f64 v[6:7], v[6:7], v[2:3], v[10:11]
	v_fma_f64 v[4:5], v[2:3], v[8:9], -v[4:5]
	buffer_load_dword v3, off, s[56:59], 0 offset:4 ; 4-byte Folded Reload
	v_mul_f64 v[4:5], v[4:5], s[2:3]
	s_waitcnt vmcnt(0)
	v_mad_u64_u32 v[8:9], null, s0, v3, 0
	v_mov_b32_e32 v2, v9
	v_mad_u64_u32 v[9:10], null, s1, v3, v[2:3]
	v_mul_f64 v[2:3], v[6:7], s[2:3]
	v_lshlrev_b64 v[6:7], 4, v[8:9]
	v_add_co_u32 v0, vcc_lo, v0, v6
	v_add_co_ci_u32_e32 v1, vcc_lo, v1, v7, vcc_lo
	global_store_dwordx4 v[0:1], v[2:5], off
.LBB0_15:
	s_endpgm
	.section	.rodata,"a",@progbits
	.p2align	6, 0x0
	.amdhsa_kernel bluestein_single_fwd_len102_dim1_dp_op_CI_CI
		.amdhsa_group_segment_fixed_size 11424
		.amdhsa_private_segment_fixed_size 272
		.amdhsa_kernarg_size 104
		.amdhsa_user_sgpr_count 6
		.amdhsa_user_sgpr_private_segment_buffer 1
		.amdhsa_user_sgpr_dispatch_ptr 0
		.amdhsa_user_sgpr_queue_ptr 0
		.amdhsa_user_sgpr_kernarg_segment_ptr 1
		.amdhsa_user_sgpr_dispatch_id 0
		.amdhsa_user_sgpr_flat_scratch_init 0
		.amdhsa_user_sgpr_private_segment_size 0
		.amdhsa_wavefront_size32 1
		.amdhsa_uses_dynamic_stack 0
		.amdhsa_system_sgpr_private_segment_wavefront_offset 1
		.amdhsa_system_sgpr_workgroup_id_x 1
		.amdhsa_system_sgpr_workgroup_id_y 0
		.amdhsa_system_sgpr_workgroup_id_z 0
		.amdhsa_system_sgpr_workgroup_info 0
		.amdhsa_system_vgpr_workitem_id 0
		.amdhsa_next_free_vgpr 256
		.amdhsa_next_free_sgpr 60
		.amdhsa_reserve_vcc 1
		.amdhsa_reserve_flat_scratch 0
		.amdhsa_float_round_mode_32 0
		.amdhsa_float_round_mode_16_64 0
		.amdhsa_float_denorm_mode_32 3
		.amdhsa_float_denorm_mode_16_64 3
		.amdhsa_dx10_clamp 1
		.amdhsa_ieee_mode 1
		.amdhsa_fp16_overflow 0
		.amdhsa_workgroup_processor_mode 1
		.amdhsa_memory_ordered 1
		.amdhsa_forward_progress 0
		.amdhsa_shared_vgpr_count 0
		.amdhsa_exception_fp_ieee_invalid_op 0
		.amdhsa_exception_fp_denorm_src 0
		.amdhsa_exception_fp_ieee_div_zero 0
		.amdhsa_exception_fp_ieee_overflow 0
		.amdhsa_exception_fp_ieee_underflow 0
		.amdhsa_exception_fp_ieee_inexact 0
		.amdhsa_exception_int_div_zero 0
	.end_amdhsa_kernel
	.text
.Lfunc_end0:
	.size	bluestein_single_fwd_len102_dim1_dp_op_CI_CI, .Lfunc_end0-bluestein_single_fwd_len102_dim1_dp_op_CI_CI
                                        ; -- End function
	.section	.AMDGPU.csdata,"",@progbits
; Kernel info:
; codeLenInByte = 20764
; NumSgprs: 62
; NumVgprs: 256
; ScratchSize: 272
; MemoryBound: 0
; FloatMode: 240
; IeeeMode: 1
; LDSByteSize: 11424 bytes/workgroup (compile time only)
; SGPRBlocks: 7
; VGPRBlocks: 31
; NumSGPRsForWavesPerEU: 62
; NumVGPRsForWavesPerEU: 256
; Occupancy: 4
; WaveLimiterHint : 1
; COMPUTE_PGM_RSRC2:SCRATCH_EN: 1
; COMPUTE_PGM_RSRC2:USER_SGPR: 6
; COMPUTE_PGM_RSRC2:TRAP_HANDLER: 0
; COMPUTE_PGM_RSRC2:TGID_X_EN: 1
; COMPUTE_PGM_RSRC2:TGID_Y_EN: 0
; COMPUTE_PGM_RSRC2:TGID_Z_EN: 0
; COMPUTE_PGM_RSRC2:TIDIG_COMP_CNT: 0
	.text
	.p2alignl 6, 3214868480
	.fill 48, 4, 3214868480
	.type	__hip_cuid_793a714bba1c66cf,@object ; @__hip_cuid_793a714bba1c66cf
	.section	.bss,"aw",@nobits
	.globl	__hip_cuid_793a714bba1c66cf
__hip_cuid_793a714bba1c66cf:
	.byte	0                               ; 0x0
	.size	__hip_cuid_793a714bba1c66cf, 1

	.ident	"AMD clang version 19.0.0git (https://github.com/RadeonOpenCompute/llvm-project roc-6.4.0 25133 c7fe45cf4b819c5991fe208aaa96edf142730f1d)"
	.section	".note.GNU-stack","",@progbits
	.addrsig
	.addrsig_sym __hip_cuid_793a714bba1c66cf
	.amdgpu_metadata
---
amdhsa.kernels:
  - .args:
      - .actual_access:  read_only
        .address_space:  global
        .offset:         0
        .size:           8
        .value_kind:     global_buffer
      - .actual_access:  read_only
        .address_space:  global
        .offset:         8
        .size:           8
        .value_kind:     global_buffer
      - .actual_access:  read_only
        .address_space:  global
        .offset:         16
        .size:           8
        .value_kind:     global_buffer
      - .actual_access:  read_only
        .address_space:  global
        .offset:         24
        .size:           8
        .value_kind:     global_buffer
      - .actual_access:  read_only
        .address_space:  global
        .offset:         32
        .size:           8
        .value_kind:     global_buffer
      - .offset:         40
        .size:           8
        .value_kind:     by_value
      - .address_space:  global
        .offset:         48
        .size:           8
        .value_kind:     global_buffer
      - .address_space:  global
        .offset:         56
        .size:           8
        .value_kind:     global_buffer
      - .address_space:  global
        .offset:         64
        .size:           8
        .value_kind:     global_buffer
      - .address_space:  global
        .offset:         72
        .size:           8
        .value_kind:     global_buffer
      - .offset:         80
        .size:           4
        .value_kind:     by_value
      - .address_space:  global
        .offset:         88
        .size:           8
        .value_kind:     global_buffer
      - .address_space:  global
        .offset:         96
        .size:           8
        .value_kind:     global_buffer
    .group_segment_fixed_size: 11424
    .kernarg_segment_align: 8
    .kernarg_segment_size: 104
    .language:       OpenCL C
    .language_version:
      - 2
      - 0
    .max_flat_workgroup_size: 119
    .name:           bluestein_single_fwd_len102_dim1_dp_op_CI_CI
    .private_segment_fixed_size: 272
    .sgpr_count:     62
    .sgpr_spill_count: 0
    .symbol:         bluestein_single_fwd_len102_dim1_dp_op_CI_CI.kd
    .uniform_work_group_size: 1
    .uses_dynamic_stack: false
    .vgpr_count:     256
    .vgpr_spill_count: 67
    .wavefront_size: 32
    .workgroup_processor_mode: 1
amdhsa.target:   amdgcn-amd-amdhsa--gfx1030
amdhsa.version:
  - 1
  - 2
...

	.end_amdgpu_metadata
